;; amdgpu-corpus repo=ROCm/rocFFT kind=compiled arch=gfx1201 opt=O3
	.text
	.amdgcn_target "amdgcn-amd-amdhsa--gfx1201"
	.amdhsa_code_object_version 6
	.protected	bluestein_single_back_len2002_dim1_dp_op_CI_CI ; -- Begin function bluestein_single_back_len2002_dim1_dp_op_CI_CI
	.globl	bluestein_single_back_len2002_dim1_dp_op_CI_CI
	.p2align	8
	.type	bluestein_single_back_len2002_dim1_dp_op_CI_CI,@function
bluestein_single_back_len2002_dim1_dp_op_CI_CI: ; @bluestein_single_back_len2002_dim1_dp_op_CI_CI
; %bb.0:
	s_load_b128 s[8:11], s[0:1], 0x28
	v_mul_u32_u24_e32 v1, 0x169, v0
	s_mov_b32 s2, exec_lo
	v_mov_b32_e32 v5, 0
	s_delay_alu instid0(VALU_DEP_2) | instskip(NEXT) | instid1(VALU_DEP_1)
	v_lshrrev_b32_e32 v1, 16, v1
	v_add_nc_u32_e32 v4, ttmp9, v1
	s_wait_kmcnt 0x0
	s_delay_alu instid0(VALU_DEP_1)
	v_cmpx_gt_u64_e64 s[8:9], v[4:5]
	s_cbranch_execz .LBB0_31
; %bb.1:
	s_clause 0x1
	s_load_b128 s[4:7], s[0:1], 0x18
	s_load_b64 s[16:17], s[0:1], 0x0
	v_mul_lo_u16 v1, 0xb6, v1
	s_movk_i32 s2, 0xfccd
	s_mov_b32 s3, -1
	v_mov_b32_e32 v5, v4
	s_delay_alu instid0(VALU_DEP_2) | instskip(SKIP_2) | instid1(VALU_DEP_1)
	v_sub_nc_u16 v82, v0, v1
	scratch_store_b64 off, v[5:6], off offset:28 ; 8-byte Folded Spill
	v_and_b32_e32 v150, 0xffff, v82
	v_lshlrev_b32_e32 v255, 4, v150
	s_wait_kmcnt 0x0
	s_load_b128 s[12:15], s[4:5], 0x0
	s_clause 0x7
	global_load_b128 v[83:86], v255, s[16:17] offset:16016
	global_load_b128 v[87:90], v255, s[16:17]
	global_load_b128 v[91:94], v255, s[16:17] offset:2912
	global_load_b128 v[95:98], v255, s[16:17] offset:18928
	;; [unrolled: 1-line block ×6, first 2 shown]
	s_wait_kmcnt 0x0
	v_mad_co_u64_u32 v[0:1], null, s14, v4, 0
	v_mad_co_u64_u32 v[2:3], null, s12, v150, 0
	s_mul_u64 s[4:5], s[12:13], 0x3e9
	s_mul_u64 s[2:3], s[12:13], s[2:3]
	s_delay_alu instid0(SALU_CYCLE_1) | instskip(NEXT) | instid1(VALU_DEP_1)
	s_lshl_b64 s[2:3], s[2:3], 4
	v_mad_co_u64_u32 v[4:5], null, s15, v4, v[1:2]
	s_delay_alu instid0(VALU_DEP_1) | instskip(SKIP_1) | instid1(VALU_DEP_1)
	v_mad_co_u64_u32 v[5:6], null, s13, v150, v[3:4]
	v_mov_b32_e32 v1, v4
	v_lshlrev_b64_e32 v[0:1], 4, v[0:1]
	s_delay_alu instid0(VALU_DEP_3) | instskip(NEXT) | instid1(VALU_DEP_2)
	v_mov_b32_e32 v3, v5
	v_add_co_u32 v0, vcc_lo, s10, v0
	s_delay_alu instid0(VALU_DEP_2) | instskip(NEXT) | instid1(VALU_DEP_4)
	v_lshlrev_b64_e32 v[2:3], 4, v[2:3]
	v_add_co_ci_u32_e32 v1, vcc_lo, s11, v1, vcc_lo
	s_lshl_b64 s[10:11], s[4:5], 4
	s_delay_alu instid0(VALU_DEP_2) | instskip(SKIP_1) | instid1(VALU_DEP_2)
	v_add_co_u32 v0, vcc_lo, v0, v2
	s_wait_alu 0xfffd
	v_add_co_ci_u32_e32 v1, vcc_lo, v1, v3, vcc_lo
	s_wait_alu 0xfffe
	s_delay_alu instid0(VALU_DEP_2) | instskip(SKIP_1) | instid1(VALU_DEP_2)
	v_add_co_u32 v6, vcc_lo, v0, s10
	s_wait_alu 0xfffd
	v_add_co_ci_u32_e32 v7, vcc_lo, s11, v1, vcc_lo
	s_delay_alu instid0(VALU_DEP_2) | instskip(SKIP_1) | instid1(VALU_DEP_2)
	v_add_co_u32 v10, vcc_lo, v6, s2
	s_wait_alu 0xfffd
	v_add_co_ci_u32_e32 v11, vcc_lo, s3, v7, vcc_lo
	s_clause 0x1
	global_load_b128 v[2:5], v[0:1], off
	global_load_b128 v[6:9], v[6:7], off
	v_add_co_u32 v14, vcc_lo, v10, s10
	s_wait_alu 0xfffd
	v_add_co_ci_u32_e32 v15, vcc_lo, s11, v11, vcc_lo
	s_delay_alu instid0(VALU_DEP_2) | instskip(SKIP_1) | instid1(VALU_DEP_2)
	v_add_co_u32 v18, vcc_lo, v14, s2
	s_wait_alu 0xfffd
	v_add_co_ci_u32_e32 v19, vcc_lo, s3, v15, vcc_lo
	s_clause 0x1
	global_load_b128 v[10:13], v[10:11], off
	global_load_b128 v[14:17], v[14:15], off
	v_add_co_u32 v0, vcc_lo, v18, s10
	s_wait_alu 0xfffd
	v_add_co_ci_u32_e32 v1, vcc_lo, s11, v19, vcc_lo
	global_load_b128 v[18:21], v[18:19], off
	v_add_co_u32 v26, vcc_lo, v0, s2
	s_wait_alu 0xfffd
	v_add_co_ci_u32_e32 v27, vcc_lo, s3, v1, vcc_lo
	;; [unrolled: 4-line block ×4, first 2 shown]
	s_delay_alu instid0(VALU_DEP_2) | instskip(SKIP_1) | instid1(VALU_DEP_2)
	v_add_co_u32 v0, vcc_lo, v34, s10
	s_wait_alu 0xfffd
	v_add_co_ci_u32_e32 v1, vcc_lo, s11, v35, vcc_lo
	global_load_b128 v[30:33], v[30:31], off
	global_load_b128 v[115:118], v255, s[16:17] offset:11648
	global_load_b128 v[34:37], v[34:35], off
	global_load_b128 v[119:122], v255, s[16:17] offset:27664
	global_load_b128 v[38:41], v[0:1], off
	v_cmp_gt_u16_e32 vcc_lo, 0x5b, v82
	s_wait_loadcnt 0x13
	scratch_store_b128 off, v[83:86], off offset:36 ; 16-byte Folded Spill
	s_wait_loadcnt 0x12
	scratch_store_b128 off, v[87:90], off offset:52 ; 16-byte Folded Spill
	;; [unrolled: 2-line block ×4, first 2 shown]
	s_wait_loadcnt 0xe
	s_clause 0x1
	scratch_store_b128 off, v[103:106], off offset:116
	scratch_store_b128 off, v[99:102], off offset:100
	s_wait_loadcnt 0xd
	scratch_store_b128 off, v[107:110], off offset:132 ; 16-byte Folded Spill
	s_wait_loadcnt 0xc
	scratch_store_b128 off, v[111:114], off offset:148 ; 16-byte Folded Spill
	s_wait_loadcnt 0xb
	v_mul_f64_e32 v[42:43], v[4:5], v[89:90]
	v_mul_f64_e32 v[44:45], v[2:3], v[89:90]
	s_wait_loadcnt 0xa
	v_mul_f64_e32 v[46:47], v[8:9], v[85:86]
	v_mul_f64_e32 v[48:49], v[6:7], v[85:86]
	;; [unrolled: 3-line block ×10, first 2 shown]
	v_fma_f64 v[2:3], v[2:3], v[87:88], v[42:43]
	v_fma_f64 v[4:5], v[4:5], v[87:88], -v[44:45]
	v_fma_f64 v[6:7], v[6:7], v[83:84], v[46:47]
	v_fma_f64 v[8:9], v[8:9], v[83:84], -v[48:49]
	s_clause 0x1
	scratch_store_b128 off, v[115:118], off offset:164
	scratch_store_b128 off, v[119:122], off offset:180
	s_load_b64 s[8:9], s[0:1], 0x38
	s_load_b128 s[4:7], s[6:7], 0x0
	v_add_co_u32 v42, s12, s16, v255
	s_wait_alu 0xf1ff
	v_add_co_ci_u32_e64 v43, null, s17, 0, s12
	v_fma_f64 v[10:11], v[10:11], v[91:92], v[50:51]
	v_fma_f64 v[12:13], v[12:13], v[91:92], -v[52:53]
	v_fma_f64 v[14:15], v[14:15], v[95:96], v[54:55]
	v_fma_f64 v[16:17], v[16:17], v[95:96], -v[56:57]
	scratch_store_b64 off, v[42:43], off offset:4 ; 8-byte Folded Spill
	v_fma_f64 v[18:19], v[18:19], v[103:104], v[58:59]
	v_fma_f64 v[20:21], v[20:21], v[103:104], -v[60:61]
	v_fma_f64 v[22:23], v[22:23], v[99:100], v[62:63]
	v_fma_f64 v[24:25], v[24:25], v[99:100], -v[64:65]
	;; [unrolled: 2-line block ×3, first 2 shown]
	ds_store_b128 v255, v[2:5]
	ds_store_b128 v255, v[10:13] offset:2912
	ds_store_b128 v255, v[14:17] offset:18928
	ds_store_b128 v255, v[22:25] offset:21840
	ds_store_b128 v255, v[18:21] offset:5824
	ds_store_b128 v255, v[26:29] offset:8736
	v_fma_f64 v[34:35], v[34:35], v[115:116], v[74:75]
	v_fma_f64 v[36:37], v[36:37], v[115:116], -v[76:77]
	v_fma_f64 v[30:31], v[30:31], v[111:112], v[70:71]
	v_fma_f64 v[32:33], v[32:33], v[111:112], -v[72:73]
	v_fma_f64 v[38:39], v[38:39], v[119:120], v[78:79]
	v_fma_f64 v[40:41], v[40:41], v[119:120], -v[80:81]
	ds_store_b128 v255, v[6:9] offset:16016
	ds_store_b128 v255, v[34:37] offset:11648
	;; [unrolled: 1-line block ×4, first 2 shown]
	s_and_saveexec_b32 s12, vcc_lo
	s_cbranch_execz .LBB0_3
; %bb.2:
	v_add_co_u32 v0, s2, v0, s2
	s_wait_alu 0xf1ff
	v_add_co_ci_u32_e64 v1, s2, s3, v1, s2
	s_delay_alu instid0(VALU_DEP_2) | instskip(SKIP_1) | instid1(VALU_DEP_2)
	v_add_co_u32 v12, s2, v0, s10
	s_wait_alu 0xf1ff
	v_add_co_ci_u32_e64 v13, s2, s11, v1, s2
	global_load_b128 v[0:3], v[0:1], off
	scratch_load_b64 v[8:9], off, off offset:4 ; 8-byte Folded Reload
	s_wait_loadcnt 0x0
	s_clause 0x1
	global_load_b128 v[4:7], v[8:9], off offset:14560
	global_load_b128 v[8:11], v[8:9], off offset:30576
	global_load_b128 v[12:15], v[12:13], off
	s_wait_loadcnt 0x2
	v_mul_f64_e32 v[16:17], v[2:3], v[6:7]
	v_mul_f64_e32 v[6:7], v[0:1], v[6:7]
	s_wait_loadcnt 0x0
	v_mul_f64_e32 v[18:19], v[14:15], v[10:11]
	v_mul_f64_e32 v[10:11], v[12:13], v[10:11]
	s_delay_alu instid0(VALU_DEP_4) | instskip(NEXT) | instid1(VALU_DEP_4)
	v_fma_f64 v[0:1], v[0:1], v[4:5], v[16:17]
	v_fma_f64 v[2:3], v[2:3], v[4:5], -v[6:7]
	s_delay_alu instid0(VALU_DEP_4) | instskip(NEXT) | instid1(VALU_DEP_4)
	v_fma_f64 v[4:5], v[12:13], v[8:9], v[18:19]
	v_fma_f64 v[6:7], v[14:15], v[8:9], -v[10:11]
	ds_store_b128 v255, v[0:3] offset:14560
	ds_store_b128 v255, v[4:7] offset:30576
.LBB0_3:
	s_wait_alu 0xfffe
	s_or_b32 exec_lo, exec_lo, s12
	global_wb scope:SCOPE_SE
	s_wait_storecnt_dscnt 0x0
	s_wait_kmcnt 0x0
	s_barrier_signal -1
	s_barrier_wait -1
	global_inv scope:SCOPE_SE
	ds_load_b128 v[40:43], v255
	ds_load_b128 v[48:51], v255 offset:2912
	ds_load_b128 v[76:79], v255 offset:18928
	;; [unrolled: 1-line block ×9, first 2 shown]
                                        ; implicit-def: $vgpr84_vgpr85
                                        ; implicit-def: $vgpr80_vgpr81
	s_and_saveexec_b32 s2, vcc_lo
	s_cbranch_execz .LBB0_5
; %bb.4:
	ds_load_b128 v[84:87], v255 offset:14560
	ds_load_b128 v[80:83], v255 offset:30576
.LBB0_5:
	s_wait_alu 0xfffe
	s_or_b32 exec_lo, exec_lo, s2
	s_wait_dscnt 0x3
	v_add_f64_e64 v[64:65], v[40:41], -v[64:65]
	v_add_f64_e64 v[66:67], v[42:43], -v[66:67]
	;; [unrolled: 1-line block ×6, first 2 shown]
	s_wait_dscnt 0x1
	v_add_f64_e64 v[44:45], v[56:57], -v[44:45]
	v_add_f64_e64 v[46:47], v[58:59], -v[46:47]
	s_wait_dscnt 0x0
	v_add_f64_e64 v[72:73], v[68:69], -v[72:73]
	v_add_f64_e64 v[74:75], v[70:71], -v[74:75]
	;; [unrolled: 1-line block ×4, first 2 shown]
	s_load_b64 s[2:3], s[0:1], 0x8
	v_lshlrev_b16 v0, 1, v150
	v_add_co_u32 v242, null, 0xb6, v150
	v_add_co_u32 v1, null, 0x38e, v150
	s_delay_alu instid0(VALU_DEP_3) | instskip(SKIP_1) | instid1(VALU_DEP_4)
	v_and_b32_e32 v0, 0xffff, v0
	v_lshlrev_b32_e32 v4, 5, v150
	v_lshlrev_b32_e32 v3, 5, v242
	global_wb scope:SCOPE_SE
	s_wait_kmcnt 0x0
	s_barrier_signal -1
	v_lshlrev_b32_e32 v2, 4, v0
	v_lshlrev_b32_e32 v0, 5, v1
	s_barrier_wait -1
	global_inv scope:SCOPE_SE
	s_clause 0x1
	scratch_store_b32 off, v2, off offset:228
	scratch_store_b32 off, v0, off offset:220
	v_fma_f64 v[40:41], v[40:41], 2.0, -v[64:65]
	v_fma_f64 v[42:43], v[42:43], 2.0, -v[66:67]
	;; [unrolled: 1-line block ×12, first 2 shown]
	ds_store_b128 v2, v[40:43]
	ds_store_b128 v2, v[64:67] offset:16
	ds_store_b128 v3, v[80:83]
	scratch_store_b32 off, v3, off offset:236 ; 4-byte Folded Spill
	ds_store_b128 v3, v[76:79] offset:16
	ds_store_b128 v4, v[60:63] offset:11648
	;; [unrolled: 1-line block ×6, first 2 shown]
	scratch_store_b32 off, v4, off offset:252 ; 4-byte Folded Spill
	ds_store_b128 v4, v[72:75] offset:23312
	s_and_saveexec_b32 s0, vcc_lo
	s_cbranch_execz .LBB0_7
; %bb.6:
	scratch_load_b32 v0, off, off offset:220 ; 4-byte Folded Reload
	s_wait_loadcnt 0x0
	ds_store_b128 v0, v[84:87]
	ds_store_b128 v0, v[88:91] offset:16
.LBB0_7:
	s_wait_alu 0xfffe
	s_or_b32 exec_lo, exec_lo, s0
	v_cmp_gt_u16_e64 s0, 0x9a, v150
	global_wb scope:SCOPE_SE
	s_wait_storecnt_dscnt 0x0
	s_barrier_signal -1
	s_barrier_wait -1
	global_inv scope:SCOPE_SE
                                        ; implicit-def: $vgpr92_vgpr93
	s_and_saveexec_b32 s1, s0
	s_cbranch_execz .LBB0_9
; %bb.8:
	ds_load_b128 v[40:43], v255
	ds_load_b128 v[64:67], v255 offset:2464
	ds_load_b128 v[80:83], v255 offset:4928
	;; [unrolled: 1-line block ×12, first 2 shown]
.LBB0_9:
	s_wait_alu 0xfffe
	s_or_b32 exec_lo, exec_lo, s1
	v_and_b32_e32 v0, 1, v150
	s_mov_b32 s25, 0xbfddbe06
	s_mov_b32 s24, 0x4267c47c
	;; [unrolled: 1-line block ×4, first 2 shown]
	scratch_store_b32 off, v0, off offset:196 ; 4-byte Folded Spill
	v_mul_u32_u24_e32 v0, 12, v0
	s_mov_b32 s13, 0x3fec55a7
	s_mov_b32 s27, 0xbfea55e2
	;; [unrolled: 1-line block ×4, first 2 shown]
	v_lshlrev_b32_e32 v4, 4, v0
	s_mov_b32 s30, 0x66966769
	s_mov_b32 s31, 0xbfefc445
	;; [unrolled: 1-line block ×3, first 2 shown]
	s_clause 0x3
	global_load_b128 v[68:71], v4, s[2:3]
	global_load_b128 v[100:103], v4, s[2:3] offset:16
	global_load_b128 v[136:139], v4, s[2:3] offset:176
	global_load_b128 v[104:107], v4, s[2:3] offset:160
	s_mov_b32 s15, 0x3fbedb7d
	s_mov_b32 s28, 0x2ef20147
	;; [unrolled: 1-line block ×19, first 2 shown]
	s_wait_loadcnt_dscnt 0x30b
	v_mul_f64_e32 v[0:1], v[66:67], v[70:71]
	v_mul_f64_e32 v[2:3], v[64:65], v[70:71]
	s_delay_alu instid0(VALU_DEP_2) | instskip(SKIP_2) | instid1(VALU_DEP_3)
	v_fma_f64 v[164:165], v[64:65], v[68:69], -v[0:1]
	s_wait_loadcnt_dscnt 0x100
	v_mul_f64_e32 v[0:1], v[92:93], v[138:139]
	v_fma_f64 v[166:167], v[66:67], v[68:69], v[2:3]
	v_mov_b32_e32 v64, v150
	s_delay_alu instid0(VALU_DEP_3) | instskip(SKIP_1) | instid1(VALU_DEP_2)
	v_fma_f64 v[65:66], v[94:95], v[136:137], v[0:1]
	v_mul_f64_e32 v[0:1], v[94:95], v[138:139]
	v_add_f64_e64 v[108:109], v[166:167], -v[65:66]
	s_delay_alu instid0(VALU_DEP_2) | instskip(SKIP_2) | instid1(VALU_DEP_4)
	v_fma_f64 v[9:10], v[92:93], v[136:137], -v[0:1]
	v_mul_f64_e32 v[0:1], v[82:83], v[102:103]
	v_add_f64_e32 v[214:215], v[166:167], v[65:66]
	v_mul_f64_e32 v[253:254], s[26:27], v[108:109]
	s_delay_alu instid0(VALU_DEP_4) | instskip(NEXT) | instid1(VALU_DEP_4)
	v_add_f64_e32 v[2:3], v[164:165], v[9:10]
	v_fma_f64 v[15:16], v[80:81], v[100:101], -v[0:1]
	v_mul_f64_e32 v[0:1], v[80:81], v[102:103]
	v_add_f64_e64 v[112:113], v[164:165], -v[9:10]
	v_mul_f64_e32 v[114:115], s[30:31], v[108:109]
	v_mul_f64_e32 v[192:193], s[34:35], v[108:109]
	s_delay_alu instid0(VALU_DEP_4)
	v_fma_f64 v[17:18], v[82:83], v[100:101], v[0:1]
	s_wait_loadcnt 0x0
	v_mul_f64_e32 v[0:1], v[88:89], v[106:107]
	s_clause 0x1
	global_load_b128 v[80:83], v4, s[2:3] offset:32
	global_load_b128 v[5:8], v4, s[2:3] offset:48
	v_mul_f64_e32 v[210:211], s[24:25], v[112:113]
	v_mul_f64_e32 v[116:117], s[30:31], v[112:113]
	v_mul_f64_e32 v[176:177], s[28:29], v[112:113]
	v_mul_f64_e32 v[196:197], s[36:37], v[112:113]
	v_fma_f64 v[11:12], v[90:91], v[104:105], v[0:1]
	v_mul_f64_e32 v[0:1], v[90:91], v[106:107]
	s_delay_alu instid0(VALU_DEP_2) | instskip(NEXT) | instid1(VALU_DEP_2)
	v_add_f64_e64 v[110:111], v[17:18], -v[11:12]
	v_fma_f64 v[13:14], v[88:89], v[104:105], -v[0:1]
	s_clause 0x1
	global_load_b128 v[88:91], v4, s[2:3] offset:144
	global_load_b128 v[92:95], v4, s[2:3] offset:128
	v_add_f64_e32 v[174:175], v[17:18], v[11:12]
	v_mul_f64_e32 v[226:227], s[38:39], v[110:111]
	v_add_f64_e32 v[162:163], v[15:16], v[13:14]
	v_add_f64_e64 v[118:119], v[15:16], -v[13:14]
	s_wait_alu 0xfffe
	s_delay_alu instid0(VALU_DEP_2) | instskip(NEXT) | instid1(VALU_DEP_2)
	v_fma_f64 v[150:151], v[162:163], s[14:15], v[226:227]
	v_mul_f64_e32 v[218:219], s[40:41], v[118:119]
	v_mul_f64_e32 v[243:244], s[38:39], v[118:119]
	s_delay_alu instid0(VALU_DEP_2) | instskip(NEXT) | instid1(VALU_DEP_2)
	v_fma_f64 v[148:149], v[174:175], s[20:21], -v[218:219]
	v_fma_f64 v[158:159], v[174:175], s[14:15], -v[243:244]
	s_wait_loadcnt 0x3
	v_mul_f64_e32 v[0:1], v[78:79], v[82:83]
	s_wait_loadcnt 0x2
	scratch_store_b128 off, v[5:8], off offset:204 ; 16-byte Folded Spill
	v_fma_f64 v[19:20], v[76:77], v[80:81], -v[0:1]
	v_mul_f64_e32 v[0:1], v[76:77], v[82:83]
	s_delay_alu instid0(VALU_DEP_1) | instskip(SKIP_2) | instid1(VALU_DEP_1)
	v_fma_f64 v[21:22], v[78:79], v[80:81], v[0:1]
	s_wait_loadcnt 0x1
	v_mul_f64_e32 v[0:1], v[86:87], v[90:91]
	v_fma_f64 v[23:24], v[84:85], v[88:89], -v[0:1]
	v_mul_f64_e32 v[0:1], v[84:85], v[90:91]
	s_delay_alu instid0(VALU_DEP_2) | instskip(NEXT) | instid1(VALU_DEP_2)
	v_add_f64_e32 v[170:171], v[19:20], v[23:24]
	v_fma_f64 v[25:26], v[86:87], v[88:89], v[0:1]
	v_mul_f64_e32 v[0:1], v[62:63], v[7:8]
	v_add_f64_e64 v[124:125], v[19:20], -v[23:24]
	s_delay_alu instid0(VALU_DEP_3) | instskip(NEXT) | instid1(VALU_DEP_3)
	v_add_f64_e64 v[122:123], v[21:22], -v[25:26]
	v_fma_f64 v[31:32], v[60:61], v[5:6], -v[0:1]
	v_mul_f64_e32 v[0:1], v[60:61], v[7:8]
	v_add_f64_e32 v[182:183], v[21:22], v[25:26]
	v_mul_f64_e32 v[245:246], s[26:27], v[124:125]
	v_mul_f64_e32 v[184:185], s[34:35], v[124:125]
	;; [unrolled: 1-line block ×3, first 2 shown]
	v_fma_f64 v[154:155], v[62:63], v[5:6], v[0:1]
	s_wait_loadcnt 0x0
	v_mul_f64_e32 v[0:1], v[74:75], v[94:95]
	v_mul_f64_e32 v[6:7], s[26:27], v[110:111]
	s_delay_alu instid0(VALU_DEP_2) | instskip(SKIP_1) | instid1(VALU_DEP_2)
	v_fma_f64 v[27:28], v[72:73], v[92:93], -v[0:1]
	v_mul_f64_e32 v[0:1], v[72:73], v[94:95]
	v_add_f64_e32 v[178:179], v[31:32], v[27:28]
	s_delay_alu instid0(VALU_DEP_2)
	v_fma_f64 v[29:30], v[74:75], v[92:93], v[0:1]
	s_clause 0x3
	global_load_b128 v[76:79], v4, s[2:3] offset:64
	global_load_b128 v[72:75], v4, s[2:3] offset:80
	;; [unrolled: 1-line block ×4, first 2 shown]
	s_clause 0x1
	scratch_store_b64 off, v[6:7], off offset:380
	scratch_store_b64 off, v[9:10], off offset:12
	v_fma_f64 v[6:7], v[162:163], s[10:11], v[6:7]
	v_mul_f64_e32 v[8:9], s[26:27], v[118:119]
	s_clause 0x3
	scratch_store_b64 off, v[13:14], off offset:260
	scratch_store_b64 off, v[15:16], off offset:268
	;; [unrolled: 1-line block ×4, first 2 shown]
	v_add_f64_e64 v[168:169], v[31:32], -v[27:28]
	v_add_f64_e64 v[126:127], v[154:155], -v[29:30]
	v_add_f64_e32 v[190:191], v[154:155], v[29:30]
	scratch_store_b64 off, v[8:9], off offset:404 ; 8-byte Folded Spill
	v_fma_f64 v[8:9], v[174:175], s[10:11], -v[8:9]
	v_mul_f64_e32 v[228:229], s[30:31], v[168:169]
	v_mul_f64_e32 v[216:217], s[30:31], v[126:127]
	s_wait_loadcnt 0x3
	v_mul_f64_e32 v[0:1], v[54:55], v[78:79]
	s_delay_alu instid0(VALU_DEP_1) | instskip(SKIP_1) | instid1(VALU_DEP_1)
	v_fma_f64 v[160:161], v[52:53], v[76:77], -v[0:1]
	v_mul_f64_e32 v[0:1], v[52:53], v[78:79]
	v_fma_f64 v[52:53], v[54:55], v[76:77], v[0:1]
	s_wait_loadcnt 0x1
	v_mul_f64_e32 v[0:1], v[58:59], v[98:99]
	s_delay_alu instid0(VALU_DEP_1) | instskip(SKIP_1) | instid1(VALU_DEP_2)
	v_fma_f64 v[54:55], v[56:57], v[96:97], -v[0:1]
	v_mul_f64_e32 v[0:1], v[56:57], v[98:99]
	v_add_f64_e32 v[186:187], v[160:161], v[54:55]
	s_delay_alu instid0(VALU_DEP_2) | instskip(SKIP_2) | instid1(VALU_DEP_3)
	v_fma_f64 v[56:57], v[58:59], v[96:97], v[0:1]
	v_mul_f64_e32 v[0:1], v[50:51], v[74:75]
	v_add_f64_e64 v[200:201], v[160:161], -v[54:55]
	v_add_f64_e64 v[60:61], v[52:53], -v[56:57]
	s_delay_alu instid0(VALU_DEP_3) | instskip(SKIP_3) | instid1(VALU_DEP_3)
	v_fma_f64 v[58:59], v[48:49], v[72:73], -v[0:1]
	v_mul_f64_e32 v[0:1], v[48:49], v[74:75]
	v_add_f64_e32 v[198:199], v[52:53], v[56:57]
	v_mul_f64_e32 v[208:209], s[26:27], v[200:201]
	v_fma_f64 v[50:51], v[50:51], v[72:73], v[0:1]
	s_wait_loadcnt 0x0
	v_mul_f64_e32 v[0:1], v[46:47], v[86:87]
	s_delay_alu instid0(VALU_DEP_1) | instskip(SKIP_1) | instid1(VALU_DEP_2)
	v_fma_f64 v[48:49], v[44:45], v[84:85], -v[0:1]
	v_mul_f64_e32 v[0:1], v[44:45], v[86:87]
	v_add_f64_e32 v[194:195], v[58:59], v[48:49]
	s_delay_alu instid0(VALU_DEP_2)
	v_fma_f64 v[44:45], v[46:47], v[84:85], v[0:1]
	v_mul_f64_e32 v[0:1], s[24:25], v[108:109]
	v_add_f64_e64 v[152:153], v[58:59], -v[48:49]
	v_mul_f64_e32 v[46:47], s[26:27], v[112:113]
	s_mov_b32 s25, 0x3fddbe06
	s_wait_alu 0xfffe
	v_mul_f64_e32 v[204:205], s[24:25], v[168:169]
	v_mul_f64_e32 v[206:207], s[24:25], v[122:123]
	;; [unrolled: 1-line block ×7, first 2 shown]
	v_add_f64_e64 v[62:63], v[50:51], -v[44:45]
	v_fma_f64 v[4:5], v[2:3], s[12:13], v[0:1]
	v_add_f64_e32 v[202:203], v[50:51], v[44:45]
	v_mul_f64_e32 v[212:213], s[34:35], v[152:153]
	v_mul_f64_e32 v[249:250], s[28:29], v[152:153]
	;; [unrolled: 1-line block ×3, first 2 shown]
	v_add_f64_e32 v[4:5], v[40:41], v[4:5]
	s_delay_alu instid0(VALU_DEP_1) | instskip(SKIP_1) | instid1(VALU_DEP_1)
	v_add_f64_e32 v[4:5], v[6:7], v[4:5]
	v_fma_f64 v[6:7], v[214:215], s[12:13], -v[210:211]
	v_add_f64_e32 v[6:7], v[42:43], v[6:7]
	s_delay_alu instid0(VALU_DEP_1)
	v_add_f64_e32 v[6:7], v[8:9], v[6:7]
	v_mul_f64_e32 v[8:9], s[30:31], v[122:123]
	scratch_store_b64 off, v[8:9], off offset:396 ; 8-byte Folded Spill
	v_fma_f64 v[8:9], v[170:171], s[14:15], v[8:9]
	s_clause 0x3
	scratch_store_b64 off, v[19:20], off offset:284
	scratch_store_b64 off, v[23:24], off offset:300
	;; [unrolled: 1-line block ×4, first 2 shown]
	v_add_f64_e32 v[4:5], v[8:9], v[4:5]
	v_mul_f64_e32 v[8:9], s[30:31], v[124:125]
	s_mov_b32 s31, 0x3fcea1e5
	s_mov_b32 s30, s36
	s_wait_alu 0xfffe
	v_mul_f64_e32 v[220:221], s[30:31], v[60:61]
	v_mul_f64_e32 v[232:233], s[30:31], v[200:201]
	;; [unrolled: 1-line block ×4, first 2 shown]
	scratch_store_b64 off, v[8:9], off offset:420 ; 8-byte Folded Spill
	v_fma_f64 v[8:9], v[182:183], s[14:15], -v[8:9]
	s_delay_alu instid0(VALU_DEP_1)
	v_add_f64_e32 v[6:7], v[8:9], v[6:7]
	v_mul_f64_e32 v[8:9], s[28:29], v[126:127]
	scratch_store_b64 off, v[8:9], off offset:412 ; 8-byte Folded Spill
	v_fma_f64 v[8:9], v[178:179], s[18:19], v[8:9]
	s_clause 0x1
	scratch_store_b64 off, v[27:28], off offset:332
	scratch_store_b64 off, v[31:32], off offset:364
	v_add_f64_e32 v[4:5], v[8:9], v[4:5]
	v_mul_f64_e32 v[8:9], s[28:29], v[168:169]
	scratch_store_b64 off, v[8:9], off offset:436 ; 8-byte Folded Spill
	v_fma_f64 v[8:9], v[190:191], s[18:19], -v[8:9]
	s_delay_alu instid0(VALU_DEP_1)
	v_add_f64_e32 v[6:7], v[8:9], v[6:7]
	v_mul_f64_e32 v[8:9], s[34:35], v[60:61]
	scratch_store_b64 off, v[29:30], off offset:348 ; 8-byte Folded Spill
	v_mul_f64_e32 v[30:31], s[24:25], v[152:153]
	scratch_store_b64 off, v[8:9], off offset:428 ; 8-byte Folded Spill
	v_fma_f64 v[8:9], v[186:187], s[20:21], v[8:9]
	s_delay_alu instid0(VALU_DEP_1) | instskip(SKIP_3) | instid1(VALU_DEP_1)
	v_add_f64_e32 v[4:5], v[8:9], v[4:5]
	v_mul_f64_e32 v[8:9], s[34:35], v[200:201]
	scratch_store_b64 off, v[8:9], off offset:452 ; 8-byte Folded Spill
	v_fma_f64 v[8:9], v[198:199], s[20:21], -v[8:9]
	v_add_f64_e32 v[6:7], v[8:9], v[6:7]
	v_mul_f64_e32 v[8:9], s[36:37], v[62:63]
	scratch_store_b64 off, v[8:9], off offset:444 ; 8-byte Folded Spill
	v_fma_f64 v[8:9], v[194:195], s[22:23], v[8:9]
	s_delay_alu instid0(VALU_DEP_1)
	v_add_f64_e32 v[128:129], v[8:9], v[4:5]
	v_mul_f64_e32 v[4:5], s[36:37], v[152:153]
	scratch_store_b64 off, v[4:5], off offset:460 ; 8-byte Folded Spill
	v_fma_f64 v[4:5], v[202:203], s[22:23], -v[4:5]
	global_wb scope:SCOPE_SE
	s_wait_storecnt 0x0
	s_barrier_signal -1
	s_barrier_wait -1
	global_inv scope:SCOPE_SE
	v_add_f64_e32 v[130:131], v[4:5], v[6:7]
	v_fma_f64 v[4:5], v[2:3], s[10:11], v[253:254]
	s_delay_alu instid0(VALU_DEP_1) | instskip(SKIP_1) | instid1(VALU_DEP_1)
	v_add_f64_e32 v[6:7], v[40:41], v[4:5]
	v_mul_f64_e32 v[4:5], s[28:29], v[110:111]
	v_fma_f64 v[8:9], v[162:163], s[18:19], v[4:5]
	s_delay_alu instid0(VALU_DEP_1) | instskip(SKIP_2) | instid1(VALU_DEP_2)
	v_add_f64_e32 v[10:11], v[8:9], v[6:7]
	v_fma_f64 v[6:7], v[214:215], s[10:11], -v[46:47]
	v_mul_f64_e32 v[8:9], s[28:29], v[118:119]
	v_add_f64_e32 v[6:7], v[42:43], v[6:7]
	s_delay_alu instid0(VALU_DEP_2) | instskip(NEXT) | instid1(VALU_DEP_1)
	v_fma_f64 v[12:13], v[174:175], s[18:19], -v[8:9]
	v_add_f64_e32 v[14:15], v[12:13], v[6:7]
	v_mul_f64_e32 v[6:7], s[36:37], v[122:123]
	s_delay_alu instid0(VALU_DEP_1) | instskip(NEXT) | instid1(VALU_DEP_1)
	v_fma_f64 v[12:13], v[170:171], s[22:23], v[6:7]
	v_add_f64_e32 v[16:17], v[12:13], v[10:11]
	v_mul_f64_e32 v[12:13], s[36:37], v[124:125]
	s_delay_alu instid0(VALU_DEP_1) | instskip(NEXT) | instid1(VALU_DEP_1)
	v_fma_f64 v[10:11], v[182:183], s[22:23], -v[12:13]
	v_add_f64_e32 v[14:15], v[10:11], v[14:15]
	v_mul_f64_e32 v[10:11], s[40:41], v[126:127]
	s_delay_alu instid0(VALU_DEP_1) | instskip(NEXT) | instid1(VALU_DEP_1)
	v_fma_f64 v[18:19], v[178:179], s[20:21], v[10:11]
	v_add_f64_e32 v[18:19], v[18:19], v[16:17]
	v_mul_f64_e32 v[16:17], s[40:41], v[168:169]
	s_delay_alu instid0(VALU_DEP_1) | instskip(NEXT) | instid1(VALU_DEP_1)
	;; [unrolled: 8-line block ×3, first 2 shown]
	v_fma_f64 v[18:19], v[198:199], s[14:15], -v[22:23]
	v_add_f64_e32 v[20:21], v[18:19], v[20:21]
	v_mul_f64_e32 v[18:19], s[24:25], v[62:63]
	s_delay_alu instid0(VALU_DEP_1) | instskip(NEXT) | instid1(VALU_DEP_1)
	v_fma_f64 v[26:27], v[194:195], s[12:13], v[18:19]
	v_add_f64_e32 v[132:133], v[26:27], v[24:25]
	v_fma_f64 v[24:25], v[202:203], s[12:13], -v[30:31]
	s_delay_alu instid0(VALU_DEP_1) | instskip(SKIP_1) | instid1(VALU_DEP_1)
	v_add_f64_e32 v[134:135], v[24:25], v[20:21]
	v_fma_f64 v[20:21], v[2:3], s[14:15], v[114:115]
	v_add_f64_e32 v[24:25], v[40:41], v[20:21]
	v_mul_f64_e32 v[20:21], s[36:37], v[110:111]
	s_delay_alu instid0(VALU_DEP_1) | instskip(NEXT) | instid1(VALU_DEP_1)
	v_fma_f64 v[26:27], v[162:163], s[22:23], v[20:21]
	v_add_f64_e32 v[28:29], v[26:27], v[24:25]
	v_fma_f64 v[24:25], v[214:215], s[14:15], -v[116:117]
	v_mul_f64_e32 v[26:27], s[36:37], v[118:119]
	s_delay_alu instid0(VALU_DEP_2) | instskip(NEXT) | instid1(VALU_DEP_2)
	v_add_f64_e32 v[24:25], v[42:43], v[24:25]
	v_fma_f64 v[32:33], v[174:175], s[22:23], -v[26:27]
	s_delay_alu instid0(VALU_DEP_1) | instskip(SKIP_2) | instid1(VALU_DEP_2)
	v_add_f64_e32 v[34:35], v[32:33], v[24:25]
	v_mul_f64_e32 v[24:25], s[42:43], v[122:123]
	v_mul_f64_e32 v[122:123], s[34:35], v[122:123]
	v_fma_f64 v[32:33], v[170:171], s[18:19], v[24:25]
	s_delay_alu instid0(VALU_DEP_1) | instskip(SKIP_1) | instid1(VALU_DEP_1)
	v_add_f64_e32 v[36:37], v[32:33], v[28:29]
	v_mul_f64_e32 v[32:33], s[42:43], v[124:125]
	v_fma_f64 v[28:29], v[182:183], s[18:19], -v[32:33]
	s_delay_alu instid0(VALU_DEP_1) | instskip(SKIP_1) | instid1(VALU_DEP_1)
	v_add_f64_e32 v[34:35], v[28:29], v[34:35]
	v_mul_f64_e32 v[28:29], s[24:25], v[126:127]
	v_fma_f64 v[38:39], v[178:179], s[12:13], v[28:29]
	s_delay_alu instid0(VALU_DEP_1) | instskip(SKIP_1) | instid1(VALU_DEP_1)
	v_add_f64_e32 v[36:37], v[38:39], v[36:37]
	v_fma_f64 v[38:39], v[190:191], s[12:13], -v[204:205]
	v_add_f64_e32 v[38:39], v[38:39], v[34:35]
	v_mul_f64_e32 v[34:35], s[26:27], v[60:61]
	s_delay_alu instid0(VALU_DEP_1) | instskip(NEXT) | instid1(VALU_DEP_1)
	v_fma_f64 v[120:121], v[186:187], s[10:11], v[34:35]
	v_add_f64_e32 v[120:121], v[120:121], v[36:37]
	v_fma_f64 v[36:37], v[198:199], s[10:11], -v[208:209]
	s_delay_alu instid0(VALU_DEP_1) | instskip(SKIP_1) | instid1(VALU_DEP_1)
	v_add_f64_e32 v[38:39], v[36:37], v[38:39]
	v_mul_f64_e32 v[36:37], s[34:35], v[62:63]
	v_fma_f64 v[140:141], v[194:195], s[20:21], v[36:37]
	s_delay_alu instid0(VALU_DEP_1) | instskip(SKIP_1) | instid1(VALU_DEP_1)
	v_add_f64_e32 v[140:141], v[140:141], v[120:121]
	v_fma_f64 v[120:121], v[202:203], s[20:21], -v[212:213]
	v_add_f64_e32 v[142:143], v[120:121], v[38:39]
	v_mul_f64_e32 v[120:121], s[28:29], v[108:109]
	s_delay_alu instid0(VALU_DEP_1) | instskip(NEXT) | instid1(VALU_DEP_1)
	v_fma_f64 v[38:39], v[2:3], s[18:19], v[120:121]
	v_add_f64_e32 v[144:145], v[40:41], v[38:39]
	v_mul_f64_e32 v[38:39], s[40:41], v[110:111]
	s_mov_b32 s41, 0x3fea55e2
	s_mov_b32 s40, s26
	v_fma_f64 v[110:111], v[162:163], s[12:13], v[180:181]
	s_wait_alu 0xfffe
	v_mul_f64_e32 v[222:223], s[40:41], v[62:63]
	v_mul_f64_e32 v[236:237], s[40:41], v[152:153]
	;; [unrolled: 1-line block ×5, first 2 shown]
	v_fma_f64 v[146:147], v[162:163], s[20:21], v[38:39]
	s_delay_alu instid0(VALU_DEP_2) | instskip(NEXT) | instid1(VALU_DEP_2)
	v_fma_f64 v[60:61], v[186:187], s[18:19], v[168:169]
	v_add_f64_e32 v[144:145], v[146:147], v[144:145]
	v_fma_f64 v[146:147], v[214:215], s[18:19], -v[176:177]
	s_delay_alu instid0(VALU_DEP_1) | instskip(NEXT) | instid1(VALU_DEP_1)
	v_add_f64_e32 v[146:147], v[42:43], v[146:147]
	v_add_f64_e32 v[146:147], v[148:149], v[146:147]
	v_fma_f64 v[148:149], v[170:171], s[12:13], v[206:207]
	s_delay_alu instid0(VALU_DEP_1) | instskip(SKIP_1) | instid1(VALU_DEP_1)
	v_add_f64_e32 v[144:145], v[148:149], v[144:145]
	v_fma_f64 v[148:149], v[182:183], s[12:13], -v[224:225]
	v_add_f64_e32 v[146:147], v[148:149], v[146:147]
	v_fma_f64 v[148:149], v[178:179], s[14:15], v[216:217]
	s_delay_alu instid0(VALU_DEP_1) | instskip(SKIP_1) | instid1(VALU_DEP_1)
	v_add_f64_e32 v[144:145], v[148:149], v[144:145]
	v_fma_f64 v[148:149], v[190:191], s[14:15], -v[228:229]
	;; [unrolled: 5-line block ×4, first 2 shown]
	v_add_f64_e32 v[146:147], v[148:149], v[146:147]
	v_fma_f64 v[148:149], v[2:3], s[20:21], v[192:193]
	s_delay_alu instid0(VALU_DEP_1) | instskip(NEXT) | instid1(VALU_DEP_1)
	v_add_f64_e32 v[148:149], v[40:41], v[148:149]
	v_add_f64_e32 v[150:151], v[150:151], v[148:149]
	v_mul_f64_e32 v[148:149], s[34:35], v[112:113]
	v_fma_f64 v[112:113], v[174:175], s[12:13], -v[188:189]
	s_delay_alu instid0(VALU_DEP_2) | instskip(NEXT) | instid1(VALU_DEP_1)
	v_fma_f64 v[156:157], v[214:215], s[20:21], -v[148:149]
	v_add_f64_e32 v[156:157], v[42:43], v[156:157]
	s_delay_alu instid0(VALU_DEP_1) | instskip(SKIP_1) | instid1(VALU_DEP_1)
	v_add_f64_e32 v[156:157], v[158:159], v[156:157]
	v_fma_f64 v[158:159], v[170:171], s[10:11], v[230:231]
	v_add_f64_e32 v[150:151], v[158:159], v[150:151]
	v_fma_f64 v[158:159], v[182:183], s[10:11], -v[245:246]
	s_delay_alu instid0(VALU_DEP_1) | instskip(SKIP_1) | instid1(VALU_DEP_1)
	v_add_f64_e32 v[156:157], v[158:159], v[156:157]
	v_fma_f64 v[158:159], v[178:179], s[22:23], v[238:239]
	v_add_f64_e32 v[150:151], v[158:159], v[150:151]
	v_fma_f64 v[158:159], v[190:191], s[22:23], -v[247:248]
	;; [unrolled: 5-line block ×4, first 2 shown]
	s_delay_alu instid0(VALU_DEP_1) | instskip(SKIP_1) | instid1(VALU_DEP_1)
	v_add_f64_e32 v[158:159], v[150:151], v[158:159]
	v_mul_f64_e32 v[150:151], s[36:37], v[108:109]
	v_fma_f64 v[108:109], v[2:3], s[22:23], v[150:151]
	s_delay_alu instid0(VALU_DEP_1) | instskip(NEXT) | instid1(VALU_DEP_1)
	v_add_f64_e32 v[108:109], v[40:41], v[108:109]
	v_add_f64_e32 v[108:109], v[110:111], v[108:109]
	v_fma_f64 v[110:111], v[214:215], s[22:23], -v[196:197]
	s_delay_alu instid0(VALU_DEP_1) | instskip(NEXT) | instid1(VALU_DEP_1)
	v_add_f64_e32 v[110:111], v[42:43], v[110:111]
	v_add_f64_e32 v[110:111], v[112:113], v[110:111]
	v_fma_f64 v[112:113], v[170:171], s[20:21], v[122:123]
	s_delay_alu instid0(VALU_DEP_1) | instskip(SKIP_1) | instid1(VALU_DEP_1)
	v_add_f64_e32 v[108:109], v[112:113], v[108:109]
	v_fma_f64 v[112:113], v[182:183], s[20:21], -v[184:185]
	v_add_f64_e32 v[110:111], v[112:113], v[110:111]
	v_fma_f64 v[112:113], v[178:179], s[10:11], v[172:173]
	s_delay_alu instid0(VALU_DEP_1) | instskip(SKIP_1) | instid1(VALU_DEP_2)
	v_add_f64_e32 v[108:109], v[112:113], v[108:109]
	v_fma_f64 v[112:113], v[190:191], s[10:11], -v[118:119]
	v_add_f64_e32 v[60:61], v[60:61], v[108:109]
	s_delay_alu instid0(VALU_DEP_2) | instskip(SKIP_1) | instid1(VALU_DEP_1)
	v_add_f64_e32 v[110:111], v[112:113], v[110:111]
	v_mul_f64_e32 v[112:113], s[28:29], v[200:201]
	v_fma_f64 v[108:109], v[198:199], s[18:19], -v[112:113]
	s_delay_alu instid0(VALU_DEP_1) | instskip(SKIP_2) | instid1(VALU_DEP_2)
	v_add_f64_e32 v[126:127], v[108:109], v[110:111]
	v_mul_f64_e32 v[108:109], s[38:39], v[62:63]
	v_mul_f64_e32 v[110:111], s[38:39], v[152:153]
	v_fma_f64 v[62:63], v[194:195], s[14:15], v[108:109]
	s_delay_alu instid0(VALU_DEP_1) | instskip(NEXT) | instid1(VALU_DEP_3)
	v_add_f64_e32 v[124:125], v[62:63], v[60:61]
	v_fma_f64 v[60:61], v[202:203], s[14:15], -v[110:111]
	s_delay_alu instid0(VALU_DEP_1)
	v_add_f64_e32 v[126:127], v[60:61], v[126:127]
	v_lshrrev_b32_e32 v60, 1, v64
	s_clause 0x1
	scratch_store_b32 off, v64, off
	scratch_store_b32 off, v60, off offset:200
	s_and_saveexec_b32 s1, s0
	s_cbranch_execz .LBB0_11
; %bb.10:
	v_mul_f64_e32 v[152:153], s[18:19], v[2:3]
	v_mul_f64_e32 v[62:63], s[22:23], v[2:3]
	;; [unrolled: 1-line block ×3, first 2 shown]
	v_add_f64_e32 v[164:165], v[40:41], v[164:165]
	v_add_f64_e32 v[166:167], v[42:43], v[166:167]
	v_add_f64_e64 v[120:121], v[152:153], -v[120:121]
	v_mul_f64_e32 v[152:153], s[14:15], v[214:215]
	v_add_f64_e64 v[62:63], v[62:63], -v[150:151]
	v_mul_f64_e32 v[150:151], s[20:21], v[214:215]
	v_add_f64_e32 v[60:61], v[196:197], v[60:61]
	v_add_f64_e32 v[120:121], v[40:41], v[120:121]
	v_add_f64_e32 v[116:117], v[116:117], v[152:153]
	v_mul_f64_e32 v[152:153], s[14:15], v[2:3]
	v_add_f64_e32 v[148:149], v[148:149], v[150:151]
	v_mul_f64_e32 v[150:151], s[18:19], v[214:215]
	s_delay_alu instid0(VALU_DEP_4) | instskip(NEXT) | instid1(VALU_DEP_4)
	v_add_f64_e32 v[116:117], v[42:43], v[116:117]
	v_add_f64_e64 v[114:115], v[152:153], -v[114:115]
	v_mul_f64_e32 v[152:153], s[10:11], v[214:215]
	s_delay_alu instid0(VALU_DEP_4) | instskip(SKIP_1) | instid1(VALU_DEP_4)
	v_add_f64_e32 v[150:151], v[176:177], v[150:151]
	v_mul_f64_e32 v[176:177], s[20:21], v[2:3]
	v_add_f64_e32 v[114:115], v[40:41], v[114:115]
	s_delay_alu instid0(VALU_DEP_4) | instskip(SKIP_1) | instid1(VALU_DEP_4)
	v_add_f64_e32 v[46:47], v[46:47], v[152:153]
	v_mul_f64_e32 v[152:153], s[10:11], v[2:3]
	v_add_f64_e64 v[176:177], v[176:177], -v[192:193]
	v_mul_f64_e32 v[2:3], s[12:13], v[2:3]
	v_mul_f64_e32 v[192:193], s[12:13], v[214:215]
	v_add_f64_e32 v[46:47], v[42:43], v[46:47]
	v_add_f64_e64 v[152:153], v[152:153], -v[253:254]
	s_delay_alu instid0(VALU_DEP_4)
	v_add_f64_e64 v[0:1], v[2:3], -v[0:1]
	v_add_f64_e32 v[2:3], v[42:43], v[60:61]
	v_add_f64_e32 v[60:61], v[40:41], v[62:63]
	;; [unrolled: 1-line block ×7, first 2 shown]
	v_mul_f64_e32 v[176:177], s[12:13], v[162:163]
	v_add_f64_e32 v[40:41], v[40:41], v[0:1]
	v_mul_f64_e32 v[0:1], s[12:13], v[174:175]
	v_add_f64_e32 v[42:43], v[42:43], v[192:193]
	s_delay_alu instid0(VALU_DEP_4) | instskip(SKIP_1) | instid1(VALU_DEP_4)
	v_add_f64_e64 v[176:177], v[176:177], -v[180:181]
	v_mul_f64_e32 v[180:181], s[20:21], v[182:183]
	v_add_f64_e32 v[0:1], v[188:189], v[0:1]
	s_delay_alu instid0(VALU_DEP_2) | instskip(SKIP_1) | instid1(VALU_DEP_3)
	v_add_f64_e32 v[180:181], v[184:185], v[180:181]
	v_mul_f64_e32 v[184:185], s[20:21], v[170:171]
	v_add_f64_e32 v[0:1], v[0:1], v[2:3]
	v_add_f64_e32 v[2:3], v[176:177], v[60:61]
	v_mul_f64_e32 v[60:61], s[18:19], v[186:187]
	s_delay_alu instid0(VALU_DEP_4) | instskip(SKIP_2) | instid1(VALU_DEP_4)
	v_add_f64_e64 v[122:123], v[184:185], -v[122:123]
	v_mul_f64_e32 v[184:185], s[10:11], v[190:191]
	v_add_f64_e32 v[0:1], v[180:181], v[0:1]
	v_add_f64_e64 v[60:61], v[60:61], -v[168:169]
	s_delay_alu instid0(VALU_DEP_4) | instskip(NEXT) | instid1(VALU_DEP_4)
	v_add_f64_e32 v[2:3], v[122:123], v[2:3]
	v_add_f64_e32 v[118:119], v[118:119], v[184:185]
	v_mul_f64_e32 v[184:185], s[10:11], v[178:179]
	v_mul_f64_e32 v[122:123], s[14:15], v[202:203]
	s_delay_alu instid0(VALU_DEP_3) | instskip(NEXT) | instid1(VALU_DEP_3)
	v_add_f64_e32 v[0:1], v[118:119], v[0:1]
	v_add_f64_e64 v[172:173], v[184:185], -v[172:173]
	v_mul_f64_e32 v[184:185], s[18:19], v[198:199]
	v_mul_f64_e32 v[118:119], s[14:15], v[194:195]
	v_add_f64_e32 v[110:111], v[110:111], v[122:123]
	s_delay_alu instid0(VALU_DEP_4) | instskip(NEXT) | instid1(VALU_DEP_4)
	v_add_f64_e32 v[2:3], v[172:173], v[2:3]
	v_add_f64_e32 v[112:113], v[112:113], v[184:185]
	s_delay_alu instid0(VALU_DEP_4) | instskip(NEXT) | instid1(VALU_DEP_3)
	v_add_f64_e64 v[108:109], v[118:119], -v[108:109]
	v_add_f64_e32 v[60:61], v[60:61], v[2:3]
	s_delay_alu instid0(VALU_DEP_3)
	v_add_f64_e32 v[0:1], v[112:113], v[0:1]
	scratch_load_b64 v[112:113], off, off offset:396 th:TH_LOAD_LU ; 8-byte Folded Reload
	v_add_f64_e32 v[2:3], v[110:111], v[0:1]
	v_add_f64_e32 v[0:1], v[108:109], v[60:61]
	v_mul_f64_e32 v[60:61], s[18:19], v[174:175]
	s_clause 0x1
	scratch_load_b64 v[110:111], off, off offset:420 th:TH_LOAD_LU
	scratch_load_b64 v[108:109], off, off offset:380 th:TH_LOAD_LU
	v_add_f64_e32 v[8:9], v[8:9], v[60:61]
	v_mul_f64_e32 v[60:61], s[18:19], v[162:163]
	s_delay_alu instid0(VALU_DEP_2) | instskip(NEXT) | instid1(VALU_DEP_2)
	v_add_f64_e32 v[8:9], v[8:9], v[46:47]
	v_add_f64_e64 v[4:5], v[60:61], -v[4:5]
	v_mul_f64_e32 v[60:61], s[22:23], v[182:183]
	v_mul_f64_e32 v[46:47], s[14:15], v[186:187]
	s_delay_alu instid0(VALU_DEP_3) | instskip(NEXT) | instid1(VALU_DEP_3)
	v_add_f64_e32 v[4:5], v[4:5], v[150:151]
	v_add_f64_e32 v[12:13], v[12:13], v[60:61]
	v_mul_f64_e32 v[60:61], s[22:23], v[170:171]
	s_delay_alu instid0(VALU_DEP_4) | instskip(NEXT) | instid1(VALU_DEP_3)
	v_add_f64_e64 v[14:15], v[46:47], -v[14:15]
	v_add_f64_e32 v[8:9], v[12:13], v[8:9]
	s_delay_alu instid0(VALU_DEP_3) | instskip(SKIP_2) | instid1(VALU_DEP_3)
	v_add_f64_e64 v[6:7], v[60:61], -v[6:7]
	v_mul_f64_e32 v[60:61], s[20:21], v[190:191]
	v_mul_f64_e32 v[12:13], s[18:19], v[182:183]
	v_add_f64_e32 v[4:5], v[6:7], v[4:5]
	s_delay_alu instid0(VALU_DEP_3)
	v_add_f64_e32 v[16:17], v[16:17], v[60:61]
	v_mul_f64_e32 v[60:61], s[20:21], v[178:179]
	v_mul_f64_e32 v[6:7], s[12:13], v[202:203]
	v_add_f64_e32 v[12:13], v[32:33], v[12:13]
	v_mul_f64_e32 v[32:33], s[18:19], v[202:203]
	v_add_f64_e32 v[8:9], v[16:17], v[8:9]
	v_add_f64_e64 v[10:11], v[60:61], -v[10:11]
	v_mul_f64_e32 v[60:61], s[14:15], v[198:199]
	v_add_f64_e32 v[6:7], v[30:31], v[6:7]
	v_mul_f64_e32 v[16:17], s[12:13], v[190:191]
	v_mul_f64_e32 v[30:31], s[12:13], v[186:187]
	v_add_f64_e32 v[32:33], v[249:250], v[32:33]
	v_add_f64_e32 v[4:5], v[10:11], v[4:5]
	v_add_f64_e32 v[22:23], v[22:23], v[60:61]
	v_mul_f64_e32 v[10:11], s[12:13], v[194:195]
	v_add_f64_e32 v[16:17], v[204:205], v[16:17]
	v_mul_f64_e32 v[60:61], s[10:11], v[162:163]
	v_add_f64_e64 v[30:31], v[30:31], -v[240:241]
	v_add_f64_e32 v[4:5], v[14:15], v[4:5]
	v_add_f64_e32 v[8:9], v[22:23], v[8:9]
	v_add_f64_e64 v[10:11], v[10:11], -v[18:19]
	v_mul_f64_e32 v[14:15], s[18:19], v[170:171]
	v_mul_f64_e32 v[18:19], s[12:13], v[178:179]
	;; [unrolled: 1-line block ×3, first 2 shown]
	s_wait_loadcnt 0x0
	v_add_f64_e64 v[60:61], v[60:61], -v[108:109]
	s_clause 0x1
	scratch_load_b64 v[108:109], off, off offset:292 th:TH_LOAD_LU
	scratch_load_b64 v[46:47], off, off offset:268 th:TH_LOAD_LU
	v_add_f64_e32 v[6:7], v[6:7], v[8:9]
	v_add_f64_e32 v[4:5], v[10:11], v[4:5]
	v_mul_f64_e32 v[8:9], s[22:23], v[174:175]
	v_mul_f64_e32 v[10:11], s[22:23], v[162:163]
	v_add_f64_e64 v[14:15], v[14:15], -v[24:25]
	v_add_f64_e64 v[18:19], v[18:19], -v[28:29]
	;; [unrolled: 1-line block ×3, first 2 shown]
	v_mul_f64_e32 v[24:25], s[22:23], v[198:199]
	v_mul_f64_e32 v[28:29], s[12:13], v[198:199]
	;; [unrolled: 1-line block ×3, first 2 shown]
	v_add_f64_e32 v[40:41], v[60:61], v[40:41]
	v_add_f64_e32 v[8:9], v[26:27], v[8:9]
	v_add_f64_e64 v[10:11], v[10:11], -v[20:21]
	v_mul_f64_e32 v[20:21], s[10:11], v[198:199]
	v_mul_f64_e32 v[26:27], s[22:23], v[186:187]
	v_add_f64_e32 v[24:25], v[232:233], v[24:25]
	v_add_f64_e32 v[28:29], v[251:252], v[28:29]
	v_add_f64_e64 v[34:35], v[34:35], -v[234:235]
	v_add_f64_e32 v[8:9], v[8:9], v[116:117]
	v_add_f64_e32 v[10:11], v[10:11], v[114:115]
	;; [unrolled: 1-line block ×3, first 2 shown]
	v_add_f64_e64 v[26:27], v[26:27], -v[220:221]
	s_delay_alu instid0(VALU_DEP_4) | instskip(NEXT) | instid1(VALU_DEP_4)
	v_add_f64_e32 v[8:9], v[12:13], v[8:9]
	v_add_f64_e32 v[10:11], v[14:15], v[10:11]
	v_mul_f64_e32 v[12:13], s[20:21], v[202:203]
	v_mul_f64_e32 v[14:15], s[20:21], v[194:195]
	s_delay_alu instid0(VALU_DEP_4) | instskip(NEXT) | instid1(VALU_DEP_4)
	v_add_f64_e32 v[8:9], v[16:17], v[8:9]
	v_add_f64_e32 v[10:11], v[18:19], v[10:11]
	s_delay_alu instid0(VALU_DEP_4) | instskip(NEXT) | instid1(VALU_DEP_4)
	v_add_f64_e32 v[12:13], v[212:213], v[12:13]
	v_add_f64_e64 v[14:15], v[14:15], -v[36:37]
	v_mul_f64_e32 v[36:37], s[10:11], v[174:175]
	v_mul_f64_e32 v[18:19], s[12:13], v[170:171]
	v_add_f64_e32 v[8:9], v[20:21], v[8:9]
	v_add_f64_e32 v[16:17], v[22:23], v[10:11]
	v_mul_f64_e32 v[20:21], s[14:15], v[190:191]
	v_mul_f64_e32 v[22:23], s[14:15], v[178:179]
	v_add_f64_e64 v[18:19], v[18:19], -v[206:207]
	v_add_f64_e32 v[10:11], v[12:13], v[8:9]
	v_add_f64_e32 v[8:9], v[14:15], v[16:17]
	v_mul_f64_e32 v[14:15], s[20:21], v[162:163]
	v_mul_f64_e32 v[12:13], s[20:21], v[174:175]
	;; [unrolled: 1-line block ×3, first 2 shown]
	v_add_f64_e32 v[20:21], v[228:229], v[20:21]
	v_add_f64_e64 v[22:23], v[22:23], -v[216:217]
	v_add_f64_e64 v[14:15], v[14:15], -v[38:39]
	scratch_load_b64 v[38:39], off, off offset:404 th:TH_LOAD_LU ; 8-byte Folded Reload
	v_add_f64_e32 v[12:13], v[218:219], v[12:13]
	v_add_f64_e32 v[16:17], v[224:225], v[16:17]
	;; [unrolled: 1-line block ×3, first 2 shown]
	s_delay_alu instid0(VALU_DEP_3) | instskip(NEXT) | instid1(VALU_DEP_2)
	v_add_f64_e32 v[12:13], v[12:13], v[148:149]
	v_add_f64_e32 v[14:15], v[18:19], v[14:15]
	v_mul_f64_e32 v[18:19], s[10:11], v[194:195]
	s_delay_alu instid0(VALU_DEP_3) | instskip(SKIP_1) | instid1(VALU_DEP_4)
	v_add_f64_e32 v[12:13], v[16:17], v[12:13]
	v_mul_f64_e32 v[16:17], s[10:11], v[202:203]
	v_add_f64_e32 v[14:15], v[22:23], v[14:15]
	s_delay_alu instid0(VALU_DEP_4) | instskip(NEXT) | instid1(VALU_DEP_4)
	v_add_f64_e64 v[18:19], v[18:19], -v[222:223]
	v_add_f64_e32 v[12:13], v[20:21], v[12:13]
	s_delay_alu instid0(VALU_DEP_4)
	v_add_f64_e32 v[16:17], v[236:237], v[16:17]
	v_mul_f64_e32 v[22:23], s[10:11], v[170:171]
	v_add_f64_e32 v[20:21], v[26:27], v[14:15]
	v_mul_f64_e32 v[26:27], s[22:23], v[178:179]
	;; [unrolled: 2-line block ×3, first 2 shown]
	v_add_f64_e64 v[22:23], v[22:23], -v[230:231]
	s_delay_alu instid0(VALU_DEP_4) | instskip(NEXT) | instid1(VALU_DEP_4)
	v_add_f64_e64 v[26:27], v[26:27], -v[238:239]
	v_add_f64_e32 v[14:15], v[16:17], v[12:13]
	v_add_f64_e32 v[12:13], v[18:19], v[20:21]
	v_mul_f64_e32 v[16:17], s[14:15], v[174:175]
	v_mul_f64_e32 v[18:19], s[14:15], v[162:163]
	;; [unrolled: 1-line block ×3, first 2 shown]
	v_add_f64_e32 v[24:25], v[247:248], v[24:25]
	s_delay_alu instid0(VALU_DEP_4) | instskip(NEXT) | instid1(VALU_DEP_4)
	v_add_f64_e32 v[16:17], v[243:244], v[16:17]
	v_add_f64_e64 v[18:19], v[18:19], -v[226:227]
	s_delay_alu instid0(VALU_DEP_4) | instskip(NEXT) | instid1(VALU_DEP_3)
	v_add_f64_e32 v[20:21], v[245:246], v[20:21]
	v_add_f64_e32 v[16:17], v[16:17], v[62:63]
	s_delay_alu instid0(VALU_DEP_3) | instskip(NEXT) | instid1(VALU_DEP_2)
	v_add_f64_e32 v[18:19], v[18:19], v[152:153]
	v_add_f64_e32 v[16:17], v[20:21], v[16:17]
	s_delay_alu instid0(VALU_DEP_2)
	v_add_f64_e32 v[18:19], v[22:23], v[18:19]
	s_wait_loadcnt 0x0
	v_add_f64_e32 v[36:37], v[38:39], v[36:37]
	scratch_load_b64 v[38:39], off, off offset:276 th:TH_LOAD_LU ; 8-byte Folded Reload
	v_add_f64_e32 v[16:17], v[24:25], v[16:17]
	v_add_f64_e32 v[18:19], v[26:27], v[18:19]
	s_clause 0x1
	scratch_load_b64 v[24:25], off, off offset:316 th:TH_LOAD_LU
	scratch_load_b64 v[26:27], off, off offset:300 th:TH_LOAD_LU
	v_add_f64_e32 v[36:37], v[36:37], v[42:43]
	v_add_f64_e32 v[16:17], v[28:29], v[16:17]
	;; [unrolled: 1-line block ×3, first 2 shown]
	scratch_load_b64 v[18:19], off, off offset:244 th:TH_LOAD_LU ; 8-byte Folded Reload
	v_add_f64_e32 v[46:47], v[164:165], v[46:47]
	s_wait_loadcnt 0x3
	v_add_f64_e32 v[38:39], v[166:167], v[38:39]
	s_delay_alu instid0(VALU_DEP_1) | instskip(SKIP_2) | instid1(VALU_DEP_1)
	v_add_f64_e32 v[38:39], v[38:39], v[108:109]
	scratch_load_b64 v[108:109], off, off offset:284 th:TH_LOAD_LU ; 8-byte Folded Reload
	v_add_f64_e32 v[38:39], v[38:39], v[154:155]
	v_add_f64_e32 v[38:39], v[38:39], v[52:53]
	v_mul_f64_e32 v[52:53], s[18:19], v[190:191]
	s_delay_alu instid0(VALU_DEP_2) | instskip(SKIP_1) | instid1(VALU_DEP_2)
	v_add_f64_e32 v[38:39], v[38:39], v[50:51]
	v_mul_f64_e32 v[50:51], s[18:19], v[178:179]
	v_add_f64_e32 v[38:39], v[38:39], v[44:45]
	s_delay_alu instid0(VALU_DEP_1) | instskip(SKIP_3) | instid1(VALU_DEP_1)
	v_add_f64_e32 v[38:39], v[38:39], v[56:57]
	s_wait_loadcnt 0x0
	v_add_f64_e32 v[46:47], v[46:47], v[108:109]
	v_mul_f64_e32 v[108:109], s[14:15], v[182:183]
	v_add_f64_e32 v[108:109], v[110:111], v[108:109]
	scratch_load_b64 v[110:111], off, off offset:364 th:TH_LOAD_LU ; 8-byte Folded Reload
	v_add_f64_e32 v[20:21], v[108:109], v[36:37]
	scratch_load_b64 v[36:37], off, off offset:348 th:TH_LOAD_LU ; 8-byte Folded Reload
	s_wait_loadcnt 0x0
	v_add_f64_e32 v[36:37], v[38:39], v[36:37]
	scratch_load_b64 v[38:39], off, off offset:332 th:TH_LOAD_LU ; 8-byte Folded Reload
	v_add_f64_e32 v[46:47], v[46:47], v[110:111]
	v_mul_f64_e32 v[110:111], s[14:15], v[170:171]
	v_add_f64_e32 v[24:25], v[36:37], v[24:25]
	v_mul_f64_e32 v[36:37], s[22:23], v[194:195]
	s_delay_alu instid0(VALU_DEP_4) | instskip(NEXT) | instid1(VALU_DEP_3)
	v_add_f64_e32 v[46:47], v[46:47], v[160:161]
	v_add_f64_e32 v[24:25], v[24:25], v[18:19]
	scratch_load_b64 v[18:19], off, off offset:260 th:TH_LOAD_LU ; 8-byte Folded Reload
	v_add_f64_e32 v[46:47], v[46:47], v[58:59]
	scratch_load_b64 v[58:59], off, off offset:412 th:TH_LOAD_LU ; 8-byte Folded Reload
	v_add_f64_e32 v[44:45], v[46:47], v[48:49]
	v_mul_f64_e32 v[46:47], s[20:21], v[198:199]
	scratch_load_b64 v[48:49], off, off offset:452 th:TH_LOAD_LU ; 8-byte Folded Reload
	v_add_f64_e32 v[42:43], v[44:45], v[54:55]
	v_mul_f64_e32 v[44:45], s[20:21], v[186:187]
	s_wait_loadcnt 0x3
	s_delay_alu instid0(VALU_DEP_2)
	v_add_f64_e32 v[38:39], v[42:43], v[38:39]
	scratch_load_b64 v[42:43], off, off offset:460 th:TH_LOAD_LU ; 8-byte Folded Reload
	v_add_f64_e32 v[26:27], v[38:39], v[26:27]
	scratch_load_b64 v[38:39], off, off offset:444 th:TH_LOAD_LU ; 8-byte Folded Reload
	s_wait_loadcnt 0x2
	v_add_f64_e32 v[46:47], v[48:49], v[46:47]
	scratch_load_b64 v[48:49], off, off offset:428 th:TH_LOAD_LU ; 8-byte Folded Reload
	v_add_f64_e64 v[50:51], v[50:51], -v[58:59]
	s_wait_loadcnt 0x1
	v_add_f64_e64 v[36:37], v[36:37], -v[38:39]
	v_add_f64_e32 v[38:39], v[26:27], v[18:19]
	v_add_f64_e32 v[18:19], v[32:33], v[16:17]
	;; [unrolled: 1-line block ×3, first 2 shown]
	s_clause 0x1
	scratch_load_b32 v28, off, off offset:200
	scratch_load_b32 v29, off, off offset:196
	v_add_f64_e64 v[110:111], v[110:111], -v[112:113]
	scratch_load_b64 v[112:113], off, off offset:436 th:TH_LOAD_LU ; 8-byte Folded Reload
	v_add_f64_e32 v[26:27], v[24:25], v[65:66]
	scratch_load_b64 v[24:25], off, off offset:12 th:TH_LOAD_LU ; 8-byte Folded Reload
	v_add_f64_e32 v[22:23], v[110:111], v[40:41]
	v_mul_f64_e32 v[40:41], s[22:23], v[202:203]
	s_wait_loadcnt 0x4
	v_add_f64_e64 v[44:45], v[44:45], -v[48:49]
	s_delay_alu instid0(VALU_DEP_3) | instskip(NEXT) | instid1(VALU_DEP_3)
	v_add_f64_e32 v[22:23], v[50:51], v[22:23]
	v_add_f64_e32 v[40:41], v[42:43], v[40:41]
	s_delay_alu instid0(VALU_DEP_2)
	v_add_f64_e32 v[30:31], v[44:45], v[22:23]
	s_wait_loadcnt 0x3
	v_mul_u32_u24_e32 v28, 26, v28
	s_wait_loadcnt 0x1
	v_add_f64_e32 v[52:53], v[112:113], v[52:53]
	s_wait_loadcnt 0x0
	v_add_f64_e32 v[24:25], v[38:39], v[24:25]
	v_or_b32_e32 v28, v28, v29
	s_delay_alu instid0(VALU_DEP_1) | instskip(NEXT) | instid1(VALU_DEP_4)
	v_lshlrev_b32_e32 v28, 4, v28
	v_add_f64_e32 v[20:21], v[52:53], v[20:21]
	s_delay_alu instid0(VALU_DEP_1) | instskip(NEXT) | instid1(VALU_DEP_1)
	v_add_f64_e32 v[20:21], v[46:47], v[20:21]
	v_add_f64_e32 v[22:23], v[40:41], v[20:21]
	;; [unrolled: 1-line block ×3, first 2 shown]
	ds_store_b128 v28, v[156:159] offset:256
	ds_store_b128 v28, v[144:147] offset:288
	;; [unrolled: 1-line block ×11, first 2 shown]
	ds_store_b128 v28, v[24:27]
	ds_store_b128 v28, v[128:131] offset:384
.LBB0_11:
	s_wait_alu 0xfffe
	s_or_b32 exec_lo, exec_lo, s1
	global_wb scope:SCOPE_SE
	s_wait_storecnt_dscnt 0x0
	s_barrier_signal -1
	s_barrier_wait -1
	global_inv scope:SCOPE_SE
	ds_load_b128 v[160:163], v255
	ds_load_b128 v[180:183], v255 offset:4576
	ds_load_b128 v[176:179], v255 offset:9152
	;; [unrolled: 1-line block ×6, first 2 shown]
	scratch_load_b32 v64, off, off          ; 4-byte Folded Reload
                                        ; implicit-def: $vgpr188_vgpr189
	s_wait_loadcnt 0x0
	v_cmp_gt_u16_e64 s1, 0x68, v64
	s_delay_alu instid0(VALU_DEP_1)
	s_and_saveexec_b32 s10, s1
	s_cbranch_execz .LBB0_13
; %bb.12:
	ds_load_b128 v[124:127], v255 offset:2912
	ds_load_b128 v[156:159], v255 offset:7488
	;; [unrolled: 1-line block ×7, first 2 shown]
.LBB0_13:
	s_wait_alu 0xfffe
	s_or_b32 exec_lo, exec_lo, s10
	v_and_b32_e32 v0, 0xff, v64
	v_and_b32_e32 v1, 0xffff, v242
	s_mov_b32 s12, 0x36b3c0b5
	s_mov_b32 s14, 0xe976ee23
	;; [unrolled: 1-line block ×3, first 2 shown]
	v_mul_lo_u16 v0, 0x4f, v0
	s_mov_b32 s13, 0x3fac98ee
	s_mov_b32 s15, 0xbfe11646
	;; [unrolled: 1-line block ×4, first 2 shown]
	v_lshrrev_b16 v63, 11, v0
	v_mul_u32_u24_e32 v0, 0x4ec5, v1
	s_mov_b32 s21, 0xbfe77f67
	s_mov_b32 s23, 0x3fd5d0dc
	;; [unrolled: 1-line block ×3, first 2 shown]
	v_mul_lo_u16 v1, v63, 26
	v_lshrrev_b32_e32 v24, 19, v0
	s_wait_alu 0xfffe
	s_mov_b32 s24, s22
	s_delay_alu instid0(VALU_DEP_2) | instskip(NEXT) | instid1(VALU_DEP_2)
	v_sub_nc_u16 v0, v64, v1
	v_mul_lo_u16 v1, v24, 26
	s_delay_alu instid0(VALU_DEP_2) | instskip(NEXT) | instid1(VALU_DEP_2)
	v_and_b32_e32 v25, 0xff, v0
	v_sub_nc_u16 v26, v242, v1
	s_delay_alu instid0(VALU_DEP_2) | instskip(NEXT) | instid1(VALU_DEP_2)
	v_mad_co_u64_u32 v[0:1], null, 0x60, v25, s[2:3]
	v_mul_lo_u16 v2, 0x60, v26
	v_mad_u16 v24, 0xb6, v24, v26
	s_clause 0x3
	global_load_b128 v[120:123], v[0:1], off offset:384
	global_load_b128 v[116:119], v[0:1], off offset:400
	;; [unrolled: 1-line block ×4, first 2 shown]
	v_and_b32_e32 v2, 0xffff, v2
	s_delay_alu instid0(VALU_DEP_1)
	v_add_co_u32 v2, s10, s2, v2
	s_wait_alu 0xf1ff
	v_add_co_ci_u32_e64 v3, null, s3, 0, s10
	s_clause 0x7
	global_load_b128 v[55:58], v[2:3], off offset:384
	global_load_b128 v[51:54], v[2:3], off offset:400
	;; [unrolled: 1-line block ×8, first 2 shown]
	s_mov_b32 s10, 0x37e14327
	s_mov_b32 s11, 0x3fe948f6
	scratch_store_b32 off, v24, off offset:244 ; 4-byte Folded Spill
	s_wait_loadcnt_dscnt 0xb05
	v_mul_f64_e32 v[0:1], v[182:183], v[122:123]
	v_mul_f64_e32 v[2:3], v[180:181], v[122:123]
	s_wait_loadcnt_dscnt 0xa04
	v_mul_f64_e32 v[4:5], v[178:179], v[118:119]
	v_mul_f64_e32 v[6:7], v[176:177], v[118:119]
	;; [unrolled: 3-line block ×3, first 2 shown]
	s_wait_loadcnt 0x8
	v_mul_f64_e32 v[12:13], v[174:175], v[110:111]
	v_mul_f64_e32 v[14:15], v[172:173], v[110:111]
	s_wait_loadcnt 0x7
	v_mul_f64_e32 v[16:17], v[158:159], v[57:58]
	v_mul_f64_e32 v[18:19], v[156:157], v[57:58]
	;; [unrolled: 3-line block ×9, first 2 shown]
	s_clause 0x5
	scratch_store_b128 off, v[55:58], off offset:316
	scratch_store_b128 off, v[51:54], off offset:300
	;; [unrolled: 1-line block ×6, first 2 shown]
	v_fma_f64 v[0:1], v[180:181], v[120:121], -v[0:1]
	v_fma_f64 v[2:3], v[182:183], v[120:121], v[2:3]
	v_fma_f64 v[4:5], v[176:177], v[116:117], -v[4:5]
	v_fma_f64 v[6:7], v[178:179], v[116:117], v[6:7]
	;; [unrolled: 2-line block ×12, first 2 shown]
	v_add_f64_e32 v[51:52], v[0:1], v[8:9]
	v_add_f64_e32 v[53:54], v[2:3], v[10:11]
	;; [unrolled: 1-line block ×4, first 2 shown]
	v_add_f64_e64 v[4:5], v[4:5], -v[12:13]
	v_add_f64_e64 v[6:7], v[6:7], -v[14:15]
	;; [unrolled: 1-line block ×4, first 2 shown]
	v_add_f64_e32 v[59:60], v[16:17], v[27:28]
	v_add_f64_e32 v[61:62], v[18:19], v[29:30]
	;; [unrolled: 1-line block ×4, first 2 shown]
	v_add_f64_e64 v[20:21], v[20:21], -v[31:32]
	v_add_f64_e64 v[22:23], v[22:23], -v[33:34]
	v_add_f64_e32 v[132:133], v[35:36], v[39:40]
	v_add_f64_e32 v[134:135], v[37:38], v[41:42]
	v_add_f64_e64 v[12:13], v[39:40], -v[35:36]
	v_add_f64_e64 v[14:15], v[41:42], -v[37:38]
	v_add_f64_e32 v[31:32], v[43:44], v[47:48]
	v_add_f64_e32 v[33:34], v[45:46], v[49:50]
	v_add_f64_e64 v[35:36], v[47:48], -v[43:44]
	v_add_f64_e64 v[37:38], v[49:50], -v[45:46]
	;; [unrolled: 1-line block ×4, first 2 shown]
	v_add_f64_e32 v[8:9], v[55:56], v[51:52]
	v_add_f64_e32 v[10:11], v[57:58], v[53:54]
	v_add_f64_e64 v[140:141], v[4:5], -v[0:1]
	v_add_f64_e64 v[142:143], v[6:7], -v[2:3]
	v_add_f64_e32 v[27:28], v[128:129], v[59:60]
	v_add_f64_e32 v[29:30], v[130:131], v[61:62]
	v_add_f64_e64 v[39:40], v[51:52], -v[132:133]
	v_add_f64_e64 v[41:42], v[53:54], -v[134:135]
	;; [unrolled: 1-line block ×12, first 2 shown]
	v_add_f64_e32 v[4:5], v[12:13], v[4:5]
	v_add_f64_e32 v[6:7], v[14:15], v[6:7]
	v_add_f64_e64 v[12:13], v[0:1], -v[12:13]
	v_add_f64_e64 v[14:15], v[2:3], -v[14:15]
	v_add_f64_e32 v[20:21], v[35:36], v[20:21]
	v_add_f64_e32 v[22:23], v[37:38], v[22:23]
	v_add_f64_e64 v[35:36], v[16:17], -v[35:36]
	v_add_f64_e64 v[37:38], v[18:19], -v[37:38]
	;; [unrolled: 4-line block ×4, first 2 shown]
	s_wait_alu 0xfffe
	v_mul_f64_e32 v[39:40], s[10:11], v[39:40]
	v_mul_f64_e32 v[41:42], s[10:11], v[41:42]
	;; [unrolled: 1-line block ×6, first 2 shown]
	v_add_f64_e64 v[59:60], v[128:129], -v[59:60]
	v_add_f64_e64 v[61:62], v[130:131], -v[61:62]
	v_mul_f64_e32 v[128:129], s[18:19], v[140:141]
	v_mul_f64_e32 v[130:131], s[18:19], v[142:143]
	;; [unrolled: 1-line block ×6, first 2 shown]
	s_mov_b32 s14, 0xaaaaaaaa
	s_mov_b32 s15, 0xbff2aaaa
	v_add_f64_e32 v[0:1], v[4:5], v[0:1]
	v_add_f64_e32 v[2:3], v[6:7], v[2:3]
	;; [unrolled: 1-line block ×6, first 2 shown]
	v_mul_f64_e32 v[160:161], s[12:13], v[132:133]
	v_mul_f64_e32 v[162:163], s[12:13], v[134:135]
	v_add_f64_e32 v[124:125], v[124:125], v[164:165]
	v_add_f64_e32 v[126:127], v[126:127], v[166:167]
	v_mul_f64_e32 v[31:32], s[10:11], v[31:32]
	v_mul_f64_e32 v[33:34], s[10:11], v[33:34]
	s_mov_b32 s10, 0x5476071b
	s_mov_b32 s11, 0x3fe77f67
	s_wait_alu 0xfffe
	s_mov_b32 s20, s10
	v_fma_f64 v[4:5], v[43:44], s[12:13], v[39:40]
	v_fma_f64 v[18:19], v[45:46], s[12:13], v[41:42]
	v_fma_f64 v[20:21], v[51:52], s[10:11], -v[55:56]
	v_fma_f64 v[22:23], v[53:54], s[10:11], -v[57:58]
	v_fma_f64 v[43:44], v[12:13], s[22:23], v[47:48]
	v_fma_f64 v[45:46], v[14:15], s[22:23], v[49:50]
	v_fma_f64 v[47:48], v[140:141], s[18:19], -v[47:48]
	v_fma_f64 v[49:50], v[142:143], s[18:19], -v[49:50]
	;; [unrolled: 1-line block ×4, first 2 shown]
	s_wait_alu 0xfffe
	v_fma_f64 v[39:40], v[51:52], s[20:21], -v[39:40]
	v_fma_f64 v[41:42], v[53:54], s[20:21], -v[41:42]
	v_fma_f64 v[55:56], v[35:36], s[22:23], v[144:145]
	v_fma_f64 v[57:58], v[37:38], s[22:23], v[146:147]
	v_fma_f64 v[130:131], v[158:159], s[18:19], -v[146:147]
	v_fma_f64 v[37:38], v[37:38], s[24:25], -v[170:171]
	;; [unrolled: 1-line block ×4, first 2 shown]
	v_fma_f64 v[8:9], v[8:9], s[14:15], v[27:28]
	v_fma_f64 v[10:11], v[10:11], s[14:15], v[29:30]
	v_fma_f64 v[51:52], v[59:60], s[10:11], -v[160:161]
	v_fma_f64 v[53:54], v[61:62], s[10:11], -v[162:163]
	s_mov_b32 s10, 0x37c3f68c
	s_mov_b32 s11, 0x3fdc38aa
	v_fma_f64 v[140:141], v[164:165], s[14:15], v[124:125]
	v_fma_f64 v[142:143], v[166:167], s[14:15], v[126:127]
	v_fma_f64 v[59:60], v[59:60], s[20:21], -v[31:32]
	v_fma_f64 v[61:62], v[61:62], s[20:21], -v[33:34]
	v_fma_f64 v[31:32], v[132:133], s[12:13], v[31:32]
	v_fma_f64 v[33:34], v[134:135], s[12:13], v[33:34]
	s_wait_alu 0xfffe
	v_fma_f64 v[132:133], v[0:1], s[10:11], v[43:44]
	v_fma_f64 v[134:135], v[2:3], s[10:11], v[45:46]
	;; [unrolled: 1-line block ×9, first 2 shown]
	v_add_f64_e32 v[144:145], v[4:5], v[8:9]
	v_add_f64_e32 v[156:157], v[39:40], v[8:9]
	;; [unrolled: 1-line block ×3, first 2 shown]
	v_fma_f64 v[4:5], v[6:7], s[10:11], v[55:56]
	v_fma_f64 v[8:9], v[16:17], s[10:11], v[37:38]
	v_add_f64_e32 v[146:147], v[18:19], v[10:11]
	v_add_f64_e32 v[158:159], v[41:42], v[10:11]
	;; [unrolled: 1-line block ×3, first 2 shown]
	v_fma_f64 v[18:19], v[6:7], s[10:11], v[128:129]
	v_add_f64_e32 v[6:7], v[51:52], v[140:141]
	v_add_f64_e32 v[22:23], v[53:54], v[142:143]
	;; [unrolled: 1-line block ×6, first 2 shown]
	v_add_f64_e64 v[51:52], v[144:145], -v[134:135]
	v_add_f64_e32 v[31:32], v[134:135], v[144:145]
	v_add_f64_e32 v[35:36], v[47:48], v[156:157]
	v_add_f64_e64 v[39:40], v[160:161], -v[43:44]
	v_add_f64_e32 v[43:44], v[43:44], v[160:161]
	v_add_f64_e32 v[53:54], v[132:133], v[146:147]
	v_add_f64_e64 v[33:34], v[146:147], -v[132:133]
	v_add_f64_e64 v[37:38], v[158:159], -v[49:50]
	v_add_f64_e32 v[41:42], v[45:46], v[162:163]
	v_add_f64_e32 v[184:185], v[2:3], v[6:7]
	v_add_f64_e64 v[186:187], v[22:23], -v[18:19]
	v_add_f64_e64 v[180:181], v[10:11], -v[8:9]
	v_add_f64_e32 v[182:183], v[14:15], v[20:21]
	v_add_f64_e64 v[55:56], v[12:13], -v[0:1]
	v_add_f64_e32 v[57:58], v[4:5], v[16:17]
	v_add_f64_e64 v[45:46], v[162:163], -v[45:46]
	v_add_f64_e64 v[47:48], v[156:157], -v[47:48]
	v_add_f64_e32 v[49:50], v[49:50], v[158:159]
	scratch_store_b128 off, v[55:58], off offset:12 ; 16-byte Folded Spill
	v_and_b32_e32 v55, 0xffff, v63
	global_wb scope:SCOPE_SE
	s_wait_storecnt 0x0
	s_barrier_signal -1
	s_barrier_wait -1
	global_inv scope:SCOPE_SE
	v_mul_u32_u24_e32 v55, 0xb6, v55
	s_delay_alu instid0(VALU_DEP_1)
	v_add_lshl_u32 v24, v55, v25, 4
	ds_store_b128 v24, v[27:30]
	ds_store_b128 v24, v[31:34] offset:416
	ds_store_b128 v24, v[35:38] offset:832
	;; [unrolled: 1-line block ×5, first 2 shown]
	scratch_store_b32 off, v24, off offset:260 ; 4-byte Folded Spill
	ds_store_b128 v24, v[51:54] offset:2496
	s_and_saveexec_b32 s10, s1
	s_cbranch_execz .LBB0_15
; %bb.14:
	v_add_f64_e64 v[14:15], v[20:21], -v[14:15]
	v_add_f64_e32 v[20:21], v[0:1], v[12:13]
	scratch_load_b32 v0, off, off offset:244 ; 4-byte Folded Reload
	v_add_f64_e32 v[18:19], v[18:19], v[22:23]
	v_add_f64_e64 v[22:23], v[16:17], -v[4:5]
	v_add_f64_e32 v[12:13], v[8:9], v[10:11]
	v_add_f64_e64 v[16:17], v[6:7], -v[2:3]
	s_wait_loadcnt 0x0
	v_and_b32_e32 v0, 0xffff, v0
	s_delay_alu instid0(VALU_DEP_1)
	v_lshlrev_b32_e32 v0, 4, v0
	ds_store_b128 v0, v[184:187] offset:1664
	ds_store_b128 v0, v[180:183] offset:2080
	ds_store_b128 v0, v[124:127]
	ds_store_b128 v0, v[20:23] offset:416
	ds_store_b128 v0, v[12:15] offset:832
	;; [unrolled: 1-line block ×3, first 2 shown]
	scratch_load_b128 v[1:4], off, off offset:12 ; 16-byte Folded Reload
	s_wait_loadcnt 0x0
	ds_store_b128 v0, v[1:4] offset:2496
.LBB0_15:
	s_wait_alu 0xfffe
	s_or_b32 exec_lo, exec_lo, s10
	v_mad_co_u64_u32 v[0:1], null, 0xa0, v64, s[2:3]
	global_wb scope:SCOPE_SE
	s_wait_storecnt_dscnt 0x0
	s_barrier_signal -1
	s_barrier_wait -1
	global_inv scope:SCOPE_SE
	s_mov_b32 s26, 0xf8bb580b
	s_mov_b32 s20, 0x43842ef
	s_clause 0x5
	global_load_b128 v[156:159], v[0:1], off offset:2880
	global_load_b128 v[144:147], v[0:1], off offset:2896
	;; [unrolled: 1-line block ×6, first 2 shown]
	ds_load_b128 v[2:5], v255 offset:2912
	ds_load_b128 v[6:9], v255 offset:5824
	;; [unrolled: 1-line block ×3, first 2 shown]
	ds_load_b128 v[24:27], v255
	ds_load_b128 v[14:17], v255 offset:11648
	ds_load_b128 v[18:21], v255 offset:14560
	s_mov_b32 s24, 0xbb3a28a1
	s_mov_b32 s28, 0xfd768dbf
	;; [unrolled: 1-line block ×19, first 2 shown]
	s_wait_alu 0xfffe
	s_mov_b32 s36, s28
	s_mov_b32 s35, 0x3fefac9e
	;; [unrolled: 1-line block ×5, first 2 shown]
	s_wait_loadcnt_dscnt 0x505
	v_mul_f64_e32 v[22:23], v[4:5], v[158:159]
	v_mul_f64_e32 v[28:29], v[2:3], v[158:159]
	s_wait_loadcnt_dscnt 0x404
	v_mul_f64_e32 v[30:31], v[8:9], v[146:147]
	v_mul_f64_e32 v[32:33], v[6:7], v[146:147]
	;; [unrolled: 3-line block ×4, first 2 shown]
	s_wait_loadcnt_dscnt 0x100
	v_mul_f64_e32 v[42:43], v[20:21], v[134:135]
	v_fma_f64 v[22:23], v[2:3], v[156:157], -v[22:23]
	v_fma_f64 v[28:29], v[4:5], v[156:157], v[28:29]
	v_fma_f64 v[196:197], v[6:7], v[144:145], -v[30:31]
	v_fma_f64 v[198:199], v[8:9], v[144:145], v[32:33]
	ds_load_b128 v[2:5], v255 offset:17472
	ds_load_b128 v[6:9], v255 offset:20384
	s_clause 0x1
	global_load_b128 v[164:167], v[0:1], off offset:2976
	global_load_b128 v[168:171], v[0:1], off offset:2992
	v_fma_f64 v[200:201], v[10:11], v[124:125], -v[34:35]
	v_fma_f64 v[202:203], v[12:13], v[124:125], v[36:37]
	v_mul_f64_e32 v[30:31], v[18:19], v[134:135]
	v_fma_f64 v[204:205], v[14:15], v[128:129], -v[38:39]
	v_fma_f64 v[206:207], v[16:17], v[128:129], v[40:41]
	v_fma_f64 v[208:209], v[18:19], v[132:133], -v[42:43]
	s_wait_loadcnt_dscnt 0x201
	v_mul_f64_e32 v[10:11], v[4:5], v[142:143]
	v_mul_f64_e32 v[12:13], v[2:3], v[142:143]
	v_fma_f64 v[210:211], v[20:21], v[132:133], v[30:31]
	s_delay_alu instid0(VALU_DEP_3) | instskip(NEXT) | instid1(VALU_DEP_3)
	v_fma_f64 v[212:213], v[2:3], v[140:141], -v[10:11]
	v_fma_f64 v[214:215], v[4:5], v[140:141], v[12:13]
	s_delay_alu instid0(VALU_DEP_2) | instskip(NEXT) | instid1(VALU_DEP_2)
	v_add_f64_e64 v[240:241], v[208:209], -v[212:213]
	v_add_f64_e64 v[160:161], v[210:211], -v[214:215]
	v_add_f64_e32 v[251:252], v[210:211], v[214:215]
	s_delay_alu instid0(VALU_DEP_3) | instskip(NEXT) | instid1(VALU_DEP_3)
	v_mul_f64_e32 v[253:254], s[28:29], v[240:241]
	v_mul_f64_e32 v[162:163], s[28:29], v[160:161]
	s_wait_alu 0xfffe
	v_mul_f64_e32 v[64:65], s[30:31], v[160:161]
	v_mul_f64_e32 v[66:67], s[30:31], v[240:241]
	s_wait_loadcnt_dscnt 0x100
	v_mul_f64_e32 v[2:3], v[8:9], v[166:167]
	s_delay_alu instid0(VALU_DEP_1) | instskip(SKIP_1) | instid1(VALU_DEP_2)
	v_fma_f64 v[216:217], v[6:7], v[164:165], -v[2:3]
	v_mul_f64_e32 v[2:3], v[6:7], v[166:167]
	v_add_f64_e64 v[62:63], v[204:205], -v[216:217]
	s_delay_alu instid0(VALU_DEP_2)
	v_fma_f64 v[218:219], v[8:9], v[164:165], v[2:3]
	ds_load_b128 v[2:5], v255 offset:23296
	ds_load_b128 v[6:9], v255 offset:26208
	s_clause 0x1
	global_load_b128 v[172:175], v[0:1], off offset:3008
	global_load_b128 v[176:179], v[0:1], off offset:3024
	s_wait_loadcnt_dscnt 0x201
	v_mul_f64_e32 v[10:11], v[4:5], v[170:171]
	v_add_f64_e64 v[60:61], v[206:207], -v[218:219]
	s_delay_alu instid0(VALU_DEP_2) | instskip(SKIP_1) | instid1(VALU_DEP_1)
	v_fma_f64 v[220:221], v[2:3], v[168:169], -v[10:11]
	v_mul_f64_e32 v[2:3], v[2:3], v[170:171]
	v_fma_f64 v[222:223], v[4:5], v[168:169], v[2:3]
	s_wait_loadcnt_dscnt 0x100
	v_mul_f64_e32 v[0:1], v[8:9], v[174:175]
	s_delay_alu instid0(VALU_DEP_1) | instskip(SKIP_1) | instid1(VALU_DEP_2)
	v_fma_f64 v[224:225], v[6:7], v[172:173], -v[0:1]
	v_mul_f64_e32 v[0:1], v[6:7], v[174:175]
	v_add_f64_e32 v[236:237], v[196:197], v[224:225]
	s_delay_alu instid0(VALU_DEP_2) | instskip(SKIP_4) | instid1(VALU_DEP_2)
	v_fma_f64 v[226:227], v[8:9], v[172:173], v[0:1]
	ds_load_b128 v[0:3], v255 offset:29120
	s_wait_loadcnt_dscnt 0x0
	v_mul_f64_e32 v[4:5], v[0:1], v[178:179]
	v_add_f64_e32 v[243:244], v[198:199], v[226:227]
	v_fma_f64 v[228:229], v[2:3], v[176:177], v[4:5]
	v_mul_f64_e32 v[2:3], v[2:3], v[178:179]
	s_delay_alu instid0(VALU_DEP_2) | instskip(NEXT) | instid1(VALU_DEP_2)
	v_add_f64_e32 v[38:39], v[28:29], v[228:229]
	v_fma_f64 v[230:231], v[0:1], v[176:177], -v[2:3]
	v_add_f64_e64 v[0:1], v[28:29], -v[228:229]
	s_delay_alu instid0(VALU_DEP_2) | instskip(NEXT) | instid1(VALU_DEP_2)
	v_add_f64_e32 v[10:11], v[22:23], v[230:231]
	v_mul_f64_e32 v[2:3], s[26:27], v[0:1]
	v_mul_f64_e32 v[4:5], s[22:23], v[0:1]
	v_mul_f64_e32 v[6:7], s[20:21], v[0:1]
	v_mul_f64_e32 v[8:9], s[24:25], v[0:1]
	v_mul_f64_e32 v[0:1], s[28:29], v[0:1]
	v_fma_f64 v[12:13], v[10:11], s[18:19], -v[2:3]
	v_fma_f64 v[2:3], v[10:11], s[18:19], v[2:3]
	v_fma_f64 v[14:15], v[10:11], s[12:13], -v[4:5]
	v_fma_f64 v[4:5], v[10:11], s[12:13], v[4:5]
	v_fma_f64 v[16:17], v[10:11], s[14:15], -v[6:7]
	v_fma_f64 v[6:7], v[10:11], s[14:15], v[6:7]
	v_fma_f64 v[18:19], v[10:11], s[10:11], -v[8:9]
	v_fma_f64 v[8:9], v[10:11], s[10:11], v[8:9]
	v_fma_f64 v[36:37], v[10:11], s[2:3], -v[0:1]
	v_fma_f64 v[0:1], v[10:11], s[2:3], v[0:1]
	v_add_f64_e64 v[10:11], v[22:23], -v[230:231]
	v_add_f64_e32 v[22:23], v[24:25], v[22:23]
	v_add_f64_e32 v[12:13], v[24:25], v[12:13]
	;; [unrolled: 1-line block ×6, first 2 shown]
	v_mul_f64_e32 v[20:21], s[26:27], v[10:11]
	v_mul_f64_e32 v[30:31], s[22:23], v[10:11]
	;; [unrolled: 1-line block ×5, first 2 shown]
	scratch_store_b64 off, v[22:23], off offset:268 ; 8-byte Folded Spill
	v_add_f64_e32 v[22:23], v[26:27], v[28:29]
	scratch_store_b64 off, v[2:3], off offset:284 ; 8-byte Folded Spill
	v_fma_f64 v[40:41], v[38:39], s[18:19], v[20:21]
	v_fma_f64 v[20:21], v[38:39], s[18:19], -v[20:21]
	v_fma_f64 v[42:43], v[38:39], s[12:13], v[30:31]
	v_fma_f64 v[30:31], v[38:39], s[12:13], -v[30:31]
	;; [unrolled: 2-line block ×5, first 2 shown]
	v_add_f64_e32 v[34:35], v[24:25], v[6:7]
	v_add_f64_e32 v[52:53], v[26:27], v[40:41]
	;; [unrolled: 1-line block ×3, first 2 shown]
	scratch_store_b64 off, v[22:23], off offset:276 ; 8-byte Folded Spill
	v_add_f64_e32 v[58:59], v[26:27], v[30:31]
	v_add_f64_e32 v[40:41], v[24:25], v[16:17]
	;; [unrolled: 1-line block ×5, first 2 shown]
	v_add_f64_e64 v[24:25], v[198:199], -v[226:227]
	v_add_f64_e32 v[42:43], v[26:27], v[42:43]
	v_add_f64_e32 v[38:39], v[26:27], v[44:45]
	;; [unrolled: 1-line block ×7, first 2 shown]
	v_add_f64_e64 v[26:27], v[196:197], -v[224:225]
	v_add_f64_e64 v[50:51], v[202:203], -v[222:223]
	scratch_store_b64 off, v[2:3], off offset:292 ; 8-byte Folded Spill
	v_mul_f64_e32 v[238:239], s[22:23], v[24:25]
	v_mul_f64_e32 v[245:246], s[22:23], v[26:27]
	;; [unrolled: 1-line block ×3, first 2 shown]
	s_mov_b32 s23, 0x3fed1bb4
	s_delay_alu instid0(VALU_DEP_3) | instskip(NEXT) | instid1(VALU_DEP_1)
	v_fma_f64 v[0:1], v[236:237], s[12:13], -v[238:239]
	v_add_f64_e32 v[4:5], v[0:1], v[12:13]
	s_delay_alu instid0(VALU_DEP_4) | instskip(NEXT) | instid1(VALU_DEP_1)
	v_fma_f64 v[0:1], v[243:244], s[12:13], v[245:246]
	v_add_f64_e32 v[8:9], v[0:1], v[52:53]
	v_add_f64_e32 v[0:1], v[200:201], v[220:221]
	v_add_f64_e64 v[52:53], v[200:201], -v[220:221]
	s_delay_alu instid0(VALU_DEP_2) | instskip(NEXT) | instid1(VALU_DEP_1)
	v_fma_f64 v[6:7], v[0:1], s[14:15], -v[2:3]
	v_add_f64_e32 v[12:13], v[6:7], v[4:5]
	v_add_f64_e32 v[4:5], v[202:203], v[222:223]
	s_delay_alu instid0(VALU_DEP_4) | instskip(NEXT) | instid1(VALU_DEP_1)
	v_mul_f64_e32 v[6:7], s[20:21], v[52:53]
	v_fma_f64 v[10:11], v[4:5], s[14:15], v[6:7]
	s_delay_alu instid0(VALU_DEP_1) | instskip(SKIP_2) | instid1(VALU_DEP_1)
	v_add_f64_e32 v[36:37], v[10:11], v[8:9]
	v_add_f64_e32 v[8:9], v[204:205], v[216:217]
	v_mul_f64_e32 v[10:11], s[24:25], v[60:61]
	v_fma_f64 v[14:15], v[8:9], s[10:11], -v[10:11]
	s_delay_alu instid0(VALU_DEP_1) | instskip(SKIP_2) | instid1(VALU_DEP_1)
	v_add_f64_e32 v[44:45], v[14:15], v[12:13]
	v_add_f64_e32 v[12:13], v[206:207], v[218:219]
	v_mul_f64_e32 v[14:15], s[24:25], v[62:63]
	v_fma_f64 v[46:47], v[12:13], s[10:11], v[14:15]
	s_delay_alu instid0(VALU_DEP_1) | instskip(SKIP_1) | instid1(VALU_DEP_1)
	v_add_f64_e32 v[46:47], v[46:47], v[36:37]
	v_add_f64_e32 v[36:37], v[208:209], v[212:213]
	v_fma_f64 v[48:49], v[36:37], s[2:3], -v[162:163]
	s_delay_alu instid0(VALU_DEP_1) | instskip(SKIP_2) | instid1(VALU_DEP_2)
	v_add_f64_e32 v[192:193], v[48:49], v[44:45]
	v_fma_f64 v[44:45], v[251:252], s[2:3], v[253:254]
	v_mul_f64_e32 v[48:49], s[24:25], v[26:27]
	v_add_f64_e32 v[194:195], v[44:45], v[46:47]
	v_mul_f64_e32 v[46:47], s[24:25], v[24:25]
	s_delay_alu instid0(VALU_DEP_1) | instskip(SKIP_1) | instid1(VALU_DEP_2)
	v_fma_f64 v[44:45], v[236:237], s[10:11], -v[46:47]
	v_fma_f64 v[46:47], v[236:237], s[10:11], v[46:47]
	v_add_f64_e32 v[44:45], v[44:45], v[54:55]
	v_fma_f64 v[54:55], v[243:244], s[10:11], v[48:49]
	s_delay_alu instid0(VALU_DEP_3) | instskip(SKIP_2) | instid1(VALU_DEP_4)
	v_add_f64_e32 v[46:47], v[46:47], v[56:57]
	v_fma_f64 v[48:49], v[243:244], s[10:11], -v[48:49]
	v_fma_f64 v[56:57], v[251:252], s[18:19], -v[66:67]
	v_add_f64_e32 v[42:43], v[54:55], v[42:43]
	v_mul_f64_e32 v[54:55], s[36:37], v[50:51]
	s_delay_alu instid0(VALU_DEP_4) | instskip(NEXT) | instid1(VALU_DEP_2)
	v_add_f64_e32 v[48:49], v[48:49], v[58:59]
	v_fma_f64 v[232:233], v[0:1], s[2:3], -v[54:55]
	v_fma_f64 v[54:55], v[0:1], s[2:3], v[54:55]
	s_delay_alu instid0(VALU_DEP_2) | instskip(SKIP_1) | instid1(VALU_DEP_3)
	v_add_f64_e32 v[44:45], v[232:233], v[44:45]
	v_mul_f64_e32 v[232:233], s[36:37], v[52:53]
	v_add_f64_e32 v[46:47], v[54:55], v[46:47]
	s_delay_alu instid0(VALU_DEP_2) | instskip(SKIP_2) | instid1(VALU_DEP_3)
	v_fma_f64 v[234:235], v[4:5], s[2:3], v[232:233]
	v_fma_f64 v[54:55], v[4:5], s[2:3], -v[232:233]
	v_mul_f64_e32 v[232:233], s[24:25], v[160:161]
	v_add_f64_e32 v[42:43], v[234:235], v[42:43]
	v_mul_f64_e32 v[234:235], s[34:35], v[60:61]
	s_delay_alu instid0(VALU_DEP_4) | instskip(NEXT) | instid1(VALU_DEP_2)
	v_add_f64_e32 v[48:49], v[54:55], v[48:49]
	v_fma_f64 v[188:189], v[8:9], s[14:15], -v[234:235]
	v_fma_f64 v[54:55], v[8:9], s[14:15], v[234:235]
	v_mul_f64_e32 v[234:235], s[24:25], v[240:241]
	s_delay_alu instid0(VALU_DEP_3) | instskip(SKIP_1) | instid1(VALU_DEP_4)
	v_add_f64_e32 v[44:45], v[188:189], v[44:45]
	v_mul_f64_e32 v[188:189], s[34:35], v[62:63]
	v_add_f64_e32 v[46:47], v[54:55], v[46:47]
	s_delay_alu instid0(VALU_DEP_2) | instskip(SKIP_1) | instid1(VALU_DEP_2)
	v_fma_f64 v[54:55], v[12:13], s[14:15], -v[188:189]
	v_fma_f64 v[190:191], v[12:13], s[14:15], v[188:189]
	v_add_f64_e32 v[48:49], v[54:55], v[48:49]
	v_fma_f64 v[54:55], v[36:37], s[18:19], v[64:65]
	s_delay_alu instid0(VALU_DEP_3) | instskip(SKIP_1) | instid1(VALU_DEP_4)
	v_add_f64_e32 v[190:191], v[190:191], v[42:43]
	v_fma_f64 v[42:43], v[36:37], s[18:19], -v[64:65]
	v_add_f64_e32 v[48:49], v[56:57], v[48:49]
	s_delay_alu instid0(VALU_DEP_4) | instskip(SKIP_1) | instid1(VALU_DEP_4)
	v_add_f64_e32 v[46:47], v[54:55], v[46:47]
	v_mul_f64_e32 v[54:55], s[36:37], v[24:25]
	v_add_f64_e32 v[42:43], v[42:43], v[44:45]
	v_fma_f64 v[44:45], v[251:252], s[18:19], v[66:67]
	s_delay_alu instid0(VALU_DEP_3) | instskip(SKIP_1) | instid1(VALU_DEP_3)
	v_fma_f64 v[56:57], v[236:237], s[2:3], -v[54:55]
	v_fma_f64 v[54:55], v[236:237], s[2:3], v[54:55]
	v_add_f64_e32 v[44:45], v[44:45], v[190:191]
	s_delay_alu instid0(VALU_DEP_3) | instskip(SKIP_1) | instid1(VALU_DEP_4)
	v_add_f64_e32 v[40:41], v[56:57], v[40:41]
	v_mul_f64_e32 v[56:57], s[36:37], v[26:27]
	v_add_f64_e32 v[34:35], v[54:55], v[34:35]
	s_delay_alu instid0(VALU_DEP_2) | instskip(SKIP_2) | instid1(VALU_DEP_3)
	v_fma_f64 v[58:59], v[243:244], s[2:3], v[56:57]
	v_fma_f64 v[54:55], v[243:244], s[2:3], -v[56:57]
	v_fma_f64 v[56:57], v[251:252], s[10:11], -v[234:235]
	v_add_f64_e32 v[38:39], v[58:59], v[38:39]
	s_wait_alu 0xfffe
	v_mul_f64_e32 v[58:59], s[22:23], v[50:51]
	s_delay_alu instid0(VALU_DEP_4) | instskip(NEXT) | instid1(VALU_DEP_2)
	v_add_f64_e32 v[32:33], v[54:55], v[32:33]
	v_fma_f64 v[64:65], v[0:1], s[12:13], -v[58:59]
	v_fma_f64 v[54:55], v[0:1], s[12:13], v[58:59]
	s_delay_alu instid0(VALU_DEP_2) | instskip(SKIP_1) | instid1(VALU_DEP_3)
	v_add_f64_e32 v[40:41], v[64:65], v[40:41]
	v_mul_f64_e32 v[64:65], s[22:23], v[52:53]
	v_add_f64_e32 v[34:35], v[54:55], v[34:35]
	s_delay_alu instid0(VALU_DEP_2) | instskip(SKIP_1) | instid1(VALU_DEP_2)
	v_fma_f64 v[66:67], v[4:5], s[12:13], v[64:65]
	v_fma_f64 v[54:55], v[4:5], s[12:13], -v[64:65]
	v_add_f64_e32 v[38:39], v[66:67], v[38:39]
	v_mul_f64_e32 v[66:67], s[26:27], v[60:61]
	s_delay_alu instid0(VALU_DEP_3) | instskip(NEXT) | instid1(VALU_DEP_2)
	v_add_f64_e32 v[32:33], v[54:55], v[32:33]
	v_fma_f64 v[188:189], v[8:9], s[18:19], -v[66:67]
	v_fma_f64 v[54:55], v[8:9], s[18:19], v[66:67]
	s_delay_alu instid0(VALU_DEP_2) | instskip(SKIP_1) | instid1(VALU_DEP_3)
	v_add_f64_e32 v[40:41], v[188:189], v[40:41]
	v_mul_f64_e32 v[188:189], s[26:27], v[62:63]
	v_add_f64_e32 v[34:35], v[54:55], v[34:35]
	s_delay_alu instid0(VALU_DEP_2) | instskip(SKIP_1) | instid1(VALU_DEP_2)
	v_fma_f64 v[54:55], v[12:13], s[18:19], -v[188:189]
	v_fma_f64 v[190:191], v[12:13], s[18:19], v[188:189]
	v_add_f64_e32 v[54:55], v[54:55], v[32:33]
	v_fma_f64 v[32:33], v[36:37], s[10:11], v[232:233]
	s_delay_alu instid0(VALU_DEP_3) | instskip(SKIP_2) | instid1(VALU_DEP_4)
	v_add_f64_e32 v[190:191], v[190:191], v[38:39]
	v_fma_f64 v[38:39], v[36:37], s[10:11], -v[232:233]
	v_mul_f64_e32 v[232:233], s[22:23], v[160:161]
	v_add_f64_e32 v[32:33], v[32:33], v[34:35]
	v_add_f64_e32 v[34:35], v[56:57], v[54:55]
	v_mul_f64_e32 v[54:55], s[34:35], v[24:25]
	v_add_f64_e32 v[38:39], v[38:39], v[40:41]
	v_fma_f64 v[40:41], v[251:252], s[10:11], v[234:235]
	v_mul_f64_e32 v[234:235], s[22:23], v[240:241]
	v_mul_f64_e32 v[24:25], s[30:31], v[24:25]
	v_fma_f64 v[56:57], v[236:237], s[14:15], -v[54:55]
	v_fma_f64 v[54:55], v[236:237], s[14:15], v[54:55]
	v_add_f64_e32 v[40:41], v[40:41], v[190:191]
	s_delay_alu instid0(VALU_DEP_3) | instskip(SKIP_1) | instid1(VALU_DEP_4)
	v_add_f64_e32 v[30:31], v[56:57], v[30:31]
	v_mul_f64_e32 v[56:57], s[34:35], v[26:27]
	v_add_f64_e32 v[22:23], v[54:55], v[22:23]
	v_mul_f64_e32 v[26:27], s[30:31], v[26:27]
	s_delay_alu instid0(VALU_DEP_3) | instskip(SKIP_2) | instid1(VALU_DEP_3)
	v_fma_f64 v[58:59], v[243:244], s[14:15], v[56:57]
	v_fma_f64 v[54:55], v[243:244], s[14:15], -v[56:57]
	v_fma_f64 v[56:57], v[251:252], s[12:13], -v[234:235]
	v_add_f64_e32 v[28:29], v[58:59], v[28:29]
	v_mul_f64_e32 v[58:59], s[26:27], v[50:51]
	s_delay_alu instid0(VALU_DEP_4) | instskip(SKIP_1) | instid1(VALU_DEP_3)
	v_add_f64_e32 v[20:21], v[54:55], v[20:21]
	v_mul_f64_e32 v[50:51], s[24:25], v[50:51]
	v_fma_f64 v[64:65], v[0:1], s[18:19], -v[58:59]
	v_fma_f64 v[54:55], v[0:1], s[18:19], v[58:59]
	s_delay_alu instid0(VALU_DEP_2) | instskip(SKIP_1) | instid1(VALU_DEP_3)
	v_add_f64_e32 v[30:31], v[64:65], v[30:31]
	v_mul_f64_e32 v[64:65], s[26:27], v[52:53]
	v_add_f64_e32 v[22:23], v[54:55], v[22:23]
	v_mul_f64_e32 v[52:53], s[24:25], v[52:53]
	s_delay_alu instid0(VALU_DEP_3) | instskip(SKIP_1) | instid1(VALU_DEP_2)
	v_fma_f64 v[66:67], v[4:5], s[18:19], v[64:65]
	v_fma_f64 v[54:55], v[4:5], s[18:19], -v[64:65]
	v_add_f64_e32 v[28:29], v[66:67], v[28:29]
	v_mul_f64_e32 v[66:67], s[28:29], v[60:61]
	s_delay_alu instid0(VALU_DEP_3) | instskip(NEXT) | instid1(VALU_DEP_2)
	v_add_f64_e32 v[20:21], v[54:55], v[20:21]
	v_fma_f64 v[188:189], v[8:9], s[2:3], -v[66:67]
	v_fma_f64 v[54:55], v[8:9], s[2:3], v[66:67]
	s_delay_alu instid0(VALU_DEP_2) | instskip(SKIP_1) | instid1(VALU_DEP_3)
	v_add_f64_e32 v[30:31], v[188:189], v[30:31]
	v_mul_f64_e32 v[188:189], s[28:29], v[62:63]
	v_add_f64_e32 v[22:23], v[54:55], v[22:23]
	s_delay_alu instid0(VALU_DEP_2) | instskip(SKIP_1) | instid1(VALU_DEP_2)
	v_fma_f64 v[54:55], v[12:13], s[2:3], -v[188:189]
	v_fma_f64 v[190:191], v[12:13], s[2:3], v[188:189]
	v_add_f64_e32 v[54:55], v[54:55], v[20:21]
	v_fma_f64 v[20:21], v[36:37], s[12:13], v[232:233]
	s_delay_alu instid0(VALU_DEP_3) | instskip(SKIP_1) | instid1(VALU_DEP_3)
	v_add_f64_e32 v[190:191], v[190:191], v[28:29]
	v_fma_f64 v[28:29], v[36:37], s[12:13], -v[232:233]
	v_add_f64_e32 v[20:21], v[20:21], v[22:23]
	v_add_f64_e32 v[22:23], v[56:57], v[54:55]
	v_fma_f64 v[54:55], v[236:237], s[18:19], -v[24:25]
	v_fma_f64 v[24:25], v[236:237], s[18:19], v[24:25]
	v_add_f64_e32 v[28:29], v[28:29], v[30:31]
	v_fma_f64 v[30:31], v[251:252], s[12:13], v[234:235]
	s_delay_alu instid0(VALU_DEP_4) | instskip(SKIP_4) | instid1(VALU_DEP_4)
	v_add_f64_e32 v[18:19], v[54:55], v[18:19]
	v_fma_f64 v[54:55], v[243:244], s[18:19], v[26:27]
	v_add_f64_e32 v[24:25], v[24:25], v[249:250]
	v_fma_f64 v[26:27], v[243:244], s[18:19], -v[26:27]
	v_add_f64_e32 v[30:31], v[30:31], v[190:191]
	v_add_f64_e32 v[16:17], v[54:55], v[16:17]
	v_fma_f64 v[54:55], v[0:1], s[10:11], -v[50:51]
	v_fma_f64 v[50:51], v[0:1], s[10:11], v[50:51]
	v_fma_f64 v[0:1], v[0:1], s[14:15], v[2:3]
	v_fma_f64 v[2:3], v[4:5], s[14:15], -v[6:7]
	scratch_load_b64 v[6:7], off, off offset:292 th:TH_LOAD_LU ; 8-byte Folded Reload
	v_add_f64_e32 v[26:27], v[26:27], v[247:248]
	v_add_f64_e32 v[18:19], v[54:55], v[18:19]
	v_fma_f64 v[54:55], v[4:5], s[10:11], v[52:53]
	v_add_f64_e32 v[24:25], v[50:51], v[24:25]
	v_fma_f64 v[50:51], v[4:5], s[10:11], -v[52:53]
	scratch_load_b64 v[4:5], off, off offset:284 th:TH_LOAD_LU ; 8-byte Folded Reload
	v_add_f64_e32 v[16:17], v[54:55], v[16:17]
	v_mul_f64_e32 v[54:55], s[22:23], v[60:61]
	v_add_f64_e32 v[26:27], v[50:51], v[26:27]
	v_mul_f64_e32 v[60:61], s[20:21], v[160:161]
	s_delay_alu instid0(VALU_DEP_3) | instskip(SKIP_3) | instid1(VALU_DEP_4)
	v_fma_f64 v[56:57], v[8:9], s[12:13], -v[54:55]
	v_fma_f64 v[50:51], v[8:9], s[12:13], v[54:55]
	v_fma_f64 v[8:9], v[8:9], s[10:11], v[10:11]
	v_fma_f64 v[10:11], v[12:13], s[10:11], -v[14:15]
	v_add_f64_e32 v[18:19], v[56:57], v[18:19]
	v_mul_f64_e32 v[56:57], s[22:23], v[62:63]
	v_mul_f64_e32 v[62:63], s[20:21], v[240:241]
	v_add_f64_e32 v[24:25], v[50:51], v[24:25]
	s_delay_alu instid0(VALU_DEP_3) | instskip(NEXT) | instid1(VALU_DEP_3)
	v_fma_f64 v[50:51], v[12:13], s[12:13], -v[56:57]
	v_fma_f64 v[52:53], v[251:252], s[14:15], -v[62:63]
	v_fma_f64 v[58:59], v[12:13], s[12:13], v[56:57]
	s_delay_alu instid0(VALU_DEP_3) | instskip(SKIP_1) | instid1(VALU_DEP_3)
	v_add_f64_e32 v[26:27], v[50:51], v[26:27]
	v_fma_f64 v[50:51], v[36:37], s[14:15], v[60:61]
	v_add_f64_e32 v[58:59], v[58:59], v[16:17]
	v_fma_f64 v[16:17], v[36:37], s[14:15], -v[60:61]
	s_delay_alu instid0(VALU_DEP_4) | instskip(NEXT) | instid1(VALU_DEP_4)
	v_add_f64_e32 v[26:27], v[52:53], v[26:27]
	v_add_f64_e32 v[24:25], v[50:51], v[24:25]
	v_fma_f64 v[50:51], v[236:237], s[12:13], v[238:239]
	v_fma_f64 v[52:53], v[243:244], s[12:13], -v[245:246]
	v_add_f64_e32 v[16:17], v[16:17], v[18:19]
	v_fma_f64 v[18:19], v[251:252], s[14:15], v[62:63]
	s_delay_alu instid0(VALU_DEP_1) | instskip(SKIP_1) | instid1(VALU_DEP_4)
	v_add_f64_e32 v[18:19], v[18:19], v[58:59]
	s_wait_loadcnt 0x1
	v_add_f64_e32 v[6:7], v[52:53], v[6:7]
	s_wait_loadcnt 0x0
	v_add_f64_e32 v[4:5], v[50:51], v[4:5]
	s_delay_alu instid0(VALU_DEP_2) | instskip(SKIP_1) | instid1(VALU_DEP_3)
	v_add_f64_e32 v[2:3], v[2:3], v[6:7]
	v_fma_f64 v[6:7], v[251:252], s[2:3], -v[253:254]
	v_add_f64_e32 v[0:1], v[0:1], v[4:5]
	v_fma_f64 v[4:5], v[36:37], s[2:3], v[162:163]
	s_delay_alu instid0(VALU_DEP_4) | instskip(SKIP_1) | instid1(VALU_DEP_3)
	v_add_f64_e32 v[2:3], v[10:11], v[2:3]
	s_add_nc_u64 s[2:3], s[16:17], 0x7d20
	v_add_f64_e32 v[0:1], v[8:9], v[0:1]
	s_delay_alu instid0(VALU_DEP_2)
	v_add_f64_e32 v[190:191], v[6:7], v[2:3]
	scratch_load_b64 v[2:3], off, off offset:276 th:TH_LOAD_LU ; 8-byte Folded Reload
	v_add_f64_e32 v[188:189], v[4:5], v[0:1]
	scratch_load_b64 v[0:1], off, off offset:268 th:TH_LOAD_LU ; 8-byte Folded Reload
	s_wait_loadcnt 0x1
	v_add_f64_e32 v[2:3], v[2:3], v[198:199]
	s_wait_loadcnt 0x0
	v_add_f64_e32 v[0:1], v[0:1], v[196:197]
	s_delay_alu instid0(VALU_DEP_2) | instskip(NEXT) | instid1(VALU_DEP_2)
	v_add_f64_e32 v[2:3], v[2:3], v[202:203]
	v_add_f64_e32 v[0:1], v[0:1], v[200:201]
	s_delay_alu instid0(VALU_DEP_2) | instskip(NEXT) | instid1(VALU_DEP_2)
	v_add_f64_e32 v[2:3], v[2:3], v[206:207]
	;; [unrolled: 3-line block ×8, first 2 shown]
	v_add_f64_e32 v[0:1], v[0:1], v[230:231]
	ds_store_b128 v255, v[42:45] offset:5824
	ds_store_b128 v255, v[38:41] offset:8736
	;; [unrolled: 1-line block ×10, first 2 shown]
	ds_store_b128 v255, v[0:3]
	global_wb scope:SCOPE_SE
	s_wait_storecnt_dscnt 0x0
	s_barrier_signal -1
	s_barrier_wait -1
	global_inv scope:SCOPE_SE
	scratch_load_b64 v[0:1], off, off offset:4 ; 8-byte Folded Reload
	s_wait_loadcnt 0x0
	global_load_b128 v[0:3], v[0:1], off offset:32032
	ds_load_b128 v[4:7], v255
	ds_load_b128 v[8:11], v255 offset:2912
	ds_load_b128 v[16:19], v255 offset:16016
	;; [unrolled: 1-line block ×3, first 2 shown]
	global_load_b128 v[20:23], v255, s[2:3] offset:18928
	s_wait_loadcnt_dscnt 0x103
	v_mul_f64_e32 v[12:13], v[6:7], v[2:3]
	v_mul_f64_e32 v[14:15], v[4:5], v[2:3]
	s_delay_alu instid0(VALU_DEP_2) | instskip(NEXT) | instid1(VALU_DEP_2)
	v_fma_f64 v[2:3], v[4:5], v[0:1], -v[12:13]
	v_fma_f64 v[4:5], v[6:7], v[0:1], v[14:15]
	s_clause 0x2
	global_load_b128 v[12:15], v255, s[2:3] offset:16016
	global_load_b128 v[28:31], v255, s[2:3] offset:2912
	;; [unrolled: 1-line block ×3, first 2 shown]
	s_wait_loadcnt_dscnt 0x201
	v_mul_f64_e32 v[0:1], v[18:19], v[14:15]
	v_mul_f64_e32 v[6:7], v[16:17], v[14:15]
	s_delay_alu instid0(VALU_DEP_2) | instskip(NEXT) | instid1(VALU_DEP_2)
	v_fma_f64 v[14:15], v[16:17], v[12:13], -v[0:1]
	v_fma_f64 v[16:17], v[18:19], v[12:13], v[6:7]
	s_wait_loadcnt 0x1
	v_mul_f64_e32 v[0:1], v[10:11], v[30:31]
	v_mul_f64_e32 v[12:13], v[8:9], v[30:31]
	s_delay_alu instid0(VALU_DEP_2) | instskip(NEXT) | instid1(VALU_DEP_2)
	v_fma_f64 v[6:7], v[8:9], v[28:29], -v[0:1]
	v_fma_f64 v[8:9], v[10:11], v[28:29], v[12:13]
	ds_load_b128 v[10:13], v255 offset:18928
	ds_load_b128 v[28:31], v255 offset:21840
	s_wait_dscnt 0x1
	v_mul_f64_e32 v[0:1], v[12:13], v[22:23]
	v_mul_f64_e32 v[18:19], v[10:11], v[22:23]
	s_delay_alu instid0(VALU_DEP_2) | instskip(NEXT) | instid1(VALU_DEP_2)
	v_fma_f64 v[10:11], v[10:11], v[20:21], -v[0:1]
	v_fma_f64 v[12:13], v[12:13], v[20:21], v[18:19]
	ds_load_b128 v[18:21], v255 offset:5824
	ds_load_b128 v[36:39], v255 offset:8736
	s_wait_loadcnt_dscnt 0x1
	v_mul_f64_e32 v[0:1], v[20:21], v[34:35]
	v_mul_f64_e32 v[22:23], v[18:19], v[34:35]
	s_delay_alu instid0(VALU_DEP_2) | instskip(NEXT) | instid1(VALU_DEP_2)
	v_fma_f64 v[18:19], v[18:19], v[32:33], -v[0:1]
	v_fma_f64 v[20:21], v[20:21], v[32:33], v[22:23]
	s_clause 0x1
	global_load_b128 v[32:35], v255, s[2:3] offset:21840
	global_load_b128 v[40:43], v255, s[2:3] offset:24752
	s_wait_loadcnt 0x1
	v_mul_f64_e32 v[0:1], v[30:31], v[34:35]
	v_mul_f64_e32 v[22:23], v[28:29], v[34:35]
	s_delay_alu instid0(VALU_DEP_2) | instskip(NEXT) | instid1(VALU_DEP_2)
	v_fma_f64 v[28:29], v[28:29], v[32:33], -v[0:1]
	v_fma_f64 v[30:31], v[30:31], v[32:33], v[22:23]
	s_clause 0x1
	global_load_b128 v[32:35], v255, s[2:3] offset:8736
	global_load_b128 v[44:47], v255, s[2:3] offset:11648
	ds_load_b128 v[48:51], v255 offset:24752
	ds_load_b128 v[52:55], v255 offset:27664
	s_wait_loadcnt_dscnt 0x102
	v_mul_f64_e32 v[0:1], v[38:39], v[34:35]
	v_mul_f64_e32 v[22:23], v[36:37], v[34:35]
	s_delay_alu instid0(VALU_DEP_2) | instskip(SKIP_2) | instid1(VALU_DEP_3)
	v_fma_f64 v[34:35], v[36:37], v[32:33], -v[0:1]
	s_wait_dscnt 0x1
	v_mul_f64_e32 v[0:1], v[50:51], v[42:43]
	v_fma_f64 v[36:37], v[38:39], v[32:33], v[22:23]
	v_mul_f64_e32 v[22:23], v[48:49], v[42:43]
	s_wait_loadcnt 0x0
	v_mul_f64_e32 v[32:33], v[24:25], v[46:47]
	s_delay_alu instid0(VALU_DEP_4) | instskip(SKIP_1) | instid1(VALU_DEP_4)
	v_fma_f64 v[38:39], v[48:49], v[40:41], -v[0:1]
	v_mul_f64_e32 v[0:1], v[26:27], v[46:47]
	v_fma_f64 v[40:41], v[50:51], v[40:41], v[22:23]
	s_delay_alu instid0(VALU_DEP_2)
	v_fma_f64 v[22:23], v[24:25], v[44:45], -v[0:1]
	v_fma_f64 v[24:25], v[26:27], v[44:45], v[32:33]
	global_load_b128 v[42:45], v255, s[2:3] offset:27664
	s_wait_loadcnt_dscnt 0x0
	v_mul_f64_e32 v[0:1], v[54:55], v[44:45]
	v_mul_f64_e32 v[26:27], v[52:53], v[44:45]
	s_delay_alu instid0(VALU_DEP_2) | instskip(NEXT) | instid1(VALU_DEP_2)
	v_fma_f64 v[44:45], v[52:53], v[42:43], -v[0:1]
	v_fma_f64 v[46:47], v[54:55], v[42:43], v[26:27]
	ds_store_b128 v255, v[2:5]
	ds_store_b128 v255, v[6:9] offset:2912
	ds_store_b128 v255, v[10:13] offset:18928
	;; [unrolled: 1-line block ×9, first 2 shown]
	s_and_saveexec_b32 s10, vcc_lo
	s_cbranch_execz .LBB0_17
; %bb.16:
	s_wait_alu 0xfffe
	v_add_co_u32 v4, s2, s2, v255
	s_wait_alu 0xf1ff
	v_add_co_ci_u32_e64 v5, null, s3, 0, s2
	s_clause 0x1
	global_load_b128 v[0:3], v[4:5], off offset:14560
	global_load_b128 v[4:7], v[4:5], off offset:30576
	ds_load_b128 v[8:11], v255 offset:14560
	ds_load_b128 v[12:15], v255 offset:30576
	s_wait_loadcnt_dscnt 0x101
	v_mul_f64_e32 v[16:17], v[10:11], v[2:3]
	v_mul_f64_e32 v[2:3], v[8:9], v[2:3]
	s_wait_loadcnt_dscnt 0x0
	v_mul_f64_e32 v[18:19], v[14:15], v[6:7]
	v_mul_f64_e32 v[20:21], v[12:13], v[6:7]
	s_delay_alu instid0(VALU_DEP_4) | instskip(NEXT) | instid1(VALU_DEP_4)
	v_fma_f64 v[6:7], v[8:9], v[0:1], -v[16:17]
	v_fma_f64 v[8:9], v[10:11], v[0:1], v[2:3]
	s_delay_alu instid0(VALU_DEP_4) | instskip(NEXT) | instid1(VALU_DEP_4)
	v_fma_f64 v[0:1], v[12:13], v[4:5], -v[18:19]
	v_fma_f64 v[2:3], v[14:15], v[4:5], v[20:21]
	ds_store_b128 v255, v[6:9] offset:14560
	ds_store_b128 v255, v[0:3] offset:30576
.LBB0_17:
	s_wait_alu 0xfffe
	s_or_b32 exec_lo, exec_lo, s10
	global_wb scope:SCOPE_SE
	s_wait_dscnt 0x0
	s_barrier_signal -1
	s_barrier_wait -1
	global_inv scope:SCOPE_SE
	ds_load_b128 v[196:199], v255
	ds_load_b128 v[204:207], v255 offset:2912
	ds_load_b128 v[212:215], v255 offset:18928
	;; [unrolled: 1-line block ×9, first 2 shown]
	scratch_load_b32 v0, off, off offset:252 th:TH_LOAD_LU ; 4-byte Folded Reload
	s_wait_loadcnt 0x0
	v_add_nc_u32_e32 v2, 0x2d80, v0
	v_add_nc_u32_e32 v1, 0x4440, v0
	;; [unrolled: 1-line block ×3, first 2 shown]
	s_and_saveexec_b32 s2, vcc_lo
	s_cbranch_execz .LBB0_19
; %bb.18:
	ds_load_b128 v[188:191], v255 offset:14560
	ds_load_b128 v[184:187], v255 offset:30576
.LBB0_19:
	s_wait_alu 0xfffe
	s_or_b32 exec_lo, exec_lo, s2
	global_wb scope:SCOPE_SE
	s_wait_dscnt 0x0
	s_barrier_signal -1
	s_barrier_wait -1
	global_inv scope:SCOPE_SE
	scratch_load_b32 v3, off, off offset:228 th:TH_LOAD_LU ; 4-byte Folded Reload
	v_add_f64_e64 v[220:221], v[196:197], -v[220:221]
	v_add_f64_e64 v[222:223], v[198:199], -v[222:223]
	;; [unrolled: 1-line block ×12, first 2 shown]
	v_fma_f64 v[184:185], v[196:197], 2.0, -v[220:221]
	v_fma_f64 v[186:187], v[198:199], 2.0, -v[222:223]
	;; [unrolled: 1-line block ×12, first 2 shown]
	s_wait_loadcnt 0x0
	ds_store_b128 v3, v[184:187]
	ds_store_b128 v3, v[220:223] offset:16
	scratch_load_b32 v3, off, off offset:236 th:TH_LOAD_LU ; 4-byte Folded Reload
	s_wait_loadcnt 0x0
	ds_store_b128 v3, v[224:227]
	ds_store_b128 v3, v[212:215] offset:16
	ds_store_b128 v2, v[208:211]
	ds_store_b128 v2, v[200:203] offset:16
	ds_store_b128 v1, v[196:199]
	ds_store_b128 v1, v[192:195] offset:16
	ds_store_b128 v0, v[204:207]
	ds_store_b128 v0, v[216:219] offset:16
	s_and_saveexec_b32 s2, vcc_lo
	s_cbranch_execz .LBB0_21
; %bb.20:
	scratch_load_b32 v0, off, off offset:220 th:TH_LOAD_LU ; 4-byte Folded Reload
	s_wait_loadcnt 0x0
	ds_store_b128 v0, v[188:191]
	ds_store_b128 v0, v[228:231] offset:16
.LBB0_21:
	s_wait_alu 0xfffe
	s_or_b32 exec_lo, exec_lo, s2
	global_wb scope:SCOPE_SE
	s_wait_dscnt 0x0
	s_barrier_signal -1
	s_barrier_wait -1
	global_inv scope:SCOPE_SE
	s_and_saveexec_b32 s2, s0
	s_cbranch_execz .LBB0_23
; %bb.22:
	ds_load_b128 v[184:187], v255
	ds_load_b128 v[220:223], v255 offset:2464
	ds_load_b128 v[224:227], v255 offset:4928
	;; [unrolled: 1-line block ×12, first 2 shown]
.LBB0_23:
	s_wait_alu 0xfffe
	s_or_b32 exec_lo, exec_lo, s2
	s_wait_dscnt 0xb
	v_mul_f64_e32 v[0:1], v[70:71], v[220:221]
	scratch_load_b128 v[2:5], off, off offset:204 th:TH_LOAD_LU ; 16-byte Folded Reload
	s_mov_b32 s38, 0x4267c47c
	s_mov_b32 s39, 0xbfddbe06
	;; [unrolled: 1-line block ×25, first 2 shown]
	s_wait_alu 0xfffe
	s_mov_b32 s36, s24
	s_mov_b32 s35, 0x3fefc445
	;; [unrolled: 1-line block ×11, first 2 shown]
	v_fma_f64 v[42:43], v[68:69], v[222:223], -v[0:1]
	v_mul_f64_e32 v[0:1], v[70:71], v[222:223]
	s_delay_alu instid0(VALU_DEP_1) | instskip(SKIP_2) | instid1(VALU_DEP_1)
	v_fma_f64 v[44:45], v[68:69], v[220:221], v[0:1]
	s_wait_dscnt 0x0
	v_mul_f64_e32 v[0:1], v[138:139], v[180:181]
	v_fma_f64 v[6:7], v[136:137], v[182:183], -v[0:1]
	v_mul_f64_e32 v[0:1], v[138:139], v[182:183]
	s_delay_alu instid0(VALU_DEP_2) | instskip(NEXT) | instid1(VALU_DEP_2)
	v_add_f64_e64 v[50:51], v[42:43], -v[6:7]
	v_fma_f64 v[8:9], v[136:137], v[180:181], v[0:1]
	v_mul_f64_e32 v[0:1], v[102:103], v[224:225]
	v_add_f64_e32 v[54:55], v[42:43], v[6:7]
	s_delay_alu instid0(VALU_DEP_4) | instskip(NEXT) | instid1(VALU_DEP_4)
	v_mul_f64_e32 v[253:254], s[38:39], v[50:51]
	v_add_f64_e32 v[251:252], v[44:45], v[8:9]
	s_delay_alu instid0(VALU_DEP_4)
	v_fma_f64 v[14:15], v[100:101], v[226:227], -v[0:1]
	v_mul_f64_e32 v[0:1], v[102:103], v[226:227]
	v_mul_f64_e32 v[182:183], s[12:13], v[50:51]
	v_mul_f64_e32 v[48:49], s[10:11], v[54:55]
	v_mul_f64_e32 v[62:63], s[18:19], v[54:55]
	v_mul_f64_e32 v[242:243], s[24:25], v[50:51]
	v_fma_f64 v[16:17], v[100:101], v[224:225], v[0:1]
	v_mul_f64_e32 v[0:1], v[106:107], v[228:229]
	s_delay_alu instid0(VALU_DEP_1) | instskip(SKIP_1) | instid1(VALU_DEP_2)
	v_fma_f64 v[10:11], v[104:105], v[230:231], -v[0:1]
	v_mul_f64_e32 v[0:1], v[106:107], v[230:231]
	v_add_f64_e64 v[52:53], v[14:15], -v[10:11]
	s_delay_alu instid0(VALU_DEP_2) | instskip(SKIP_2) | instid1(VALU_DEP_4)
	v_fma_f64 v[12:13], v[104:105], v[228:229], v[0:1]
	v_mul_f64_e32 v[0:1], v[82:83], v[212:213]
	v_add_f64_e32 v[56:57], v[14:15], v[10:11]
	v_mul_f64_e32 v[240:241], s[20:21], v[52:53]
	s_wait_alu 0xfffe
	v_mul_f64_e32 v[220:221], s[36:37], v[52:53]
	s_delay_alu instid0(VALU_DEP_4) | instskip(SKIP_4) | instid1(VALU_DEP_4)
	v_fma_f64 v[18:19], v[80:81], v[214:215], -v[0:1]
	v_mul_f64_e32 v[0:1], v[82:83], v[214:215]
	v_mul_f64_e32 v[100:101], s[22:23], v[56:57]
	;; [unrolled: 1-line block ×4, first 2 shown]
	v_fma_f64 v[24:25], v[80:81], v[212:213], v[0:1]
	v_mul_f64_e32 v[0:1], v[90:91], v[188:189]
	v_add_f64_e64 v[212:213], v[16:17], -v[12:13]
	s_delay_alu instid0(VALU_DEP_2) | instskip(SKIP_1) | instid1(VALU_DEP_3)
	v_fma_f64 v[20:21], v[88:89], v[190:191], -v[0:1]
	v_mul_f64_e32 v[0:1], v[90:91], v[190:191]
	v_fma_f64 v[80:81], v[212:213], s[36:37], v[100:101]
	v_mul_f64_e32 v[190:191], s[16:17], v[56:57]
	s_delay_alu instid0(VALU_DEP_4) | instskip(NEXT) | instid1(VALU_DEP_4)
	v_add_f64_e64 v[60:61], v[18:19], -v[20:21]
	v_fma_f64 v[22:23], v[88:89], v[188:189], v[0:1]
	s_wait_loadcnt 0x0
	v_mul_f64_e32 v[0:1], v[4:5], v[208:209]
	v_mul_f64_e32 v[188:189], s[30:31], v[52:53]
	s_delay_alu instid0(VALU_DEP_4) | instskip(NEXT) | instid1(VALU_DEP_4)
	v_mul_f64_e32 v[136:137], s[30:31], v[60:61]
	v_add_f64_e64 v[224:225], v[24:25], -v[22:23]
	s_delay_alu instid0(VALU_DEP_4) | instskip(SKIP_4) | instid1(VALU_DEP_4)
	v_fma_f64 v[26:27], v[2:3], v[210:211], -v[0:1]
	v_mul_f64_e32 v[0:1], v[4:5], v[210:211]
	v_mul_f64_e32 v[4:5], v[86:87], v[192:193]
	v_mul_f64_e32 v[160:161], s[14:15], v[60:61]
	v_mul_f64_e32 v[247:248], s[24:25], v[60:61]
	v_fma_f64 v[32:33], v[2:3], v[208:209], v[0:1]
	v_mul_f64_e32 v[0:1], v[94:95], v[216:217]
	v_mul_f64_e32 v[2:3], v[98:99], v[206:207]
	v_add_f64_e32 v[208:209], v[24:25], v[22:23]
	s_delay_alu instid0(VALU_DEP_3) | instskip(SKIP_1) | instid1(VALU_DEP_4)
	v_fma_f64 v[28:29], v[92:93], v[218:219], -v[0:1]
	v_mul_f64_e32 v[0:1], v[94:95], v[218:219]
	v_fma_f64 v[38:39], v[96:97], v[204:205], v[2:3]
	v_mul_f64_e32 v[2:3], v[74:75], v[198:199]
	v_mul_f64_e32 v[94:95], s[22:23], v[54:55]
	v_add_f64_e32 v[90:91], v[26:27], v[28:29]
	v_fma_f64 v[30:31], v[92:93], v[216:217], v[0:1]
	v_mul_f64_e32 v[0:1], v[78:79], v[200:201]
	v_fma_f64 v[46:47], v[72:73], v[196:197], v[2:3]
	v_mul_f64_e32 v[2:3], s[14:15], v[52:53]
	v_mul_f64_e32 v[210:211], s[10:11], v[90:91]
	v_add_f64_e32 v[216:217], v[32:33], v[30:31]
	v_fma_f64 v[34:35], v[76:77], v[202:203], -v[0:1]
	v_mul_f64_e32 v[0:1], v[78:79], v[202:203]
	s_clause 0x8
	scratch_store_b64 off, v[2:3], off offset:492
	scratch_store_b64 off, v[6:7], off offset:204
	;; [unrolled: 1-line block ×9, first 2 shown]
	v_add_f64_e64 v[78:79], v[26:27], -v[28:29]
	v_add_f64_e64 v[234:235], v[32:33], -v[30:31]
	v_mul_f64_e32 v[88:89], s[26:27], v[90:91]
	v_fma_f64 v[40:41], v[76:77], v[200:201], v[0:1]
	v_mul_f64_e32 v[0:1], v[98:99], v[204:205]
	v_add_f64_e32 v[204:205], v[16:17], v[12:13]
	v_add_f64_e32 v[76:77], v[18:19], v[20:21]
	v_mul_f64_e32 v[98:99], s[28:29], v[50:51]
	v_mul_f64_e32 v[218:219], s[42:43], v[78:79]
	v_add_f64_e32 v[228:229], v[40:41], v[38:39]
	v_fma_f64 v[36:37], v[96:97], v[206:207], -v[0:1]
	v_mul_f64_e32 v[0:1], v[74:75], v[196:197]
	v_fma_f64 v[2:3], v[204:205], s[2:3], -v[2:3]
	v_add_f64_e64 v[245:246], v[40:41], -v[38:39]
	v_mul_f64_e32 v[138:139], s[16:17], v[76:77]
	v_mul_f64_e32 v[206:207], s[12:13], v[78:79]
	;; [unrolled: 1-line block ×4, first 2 shown]
	v_add_f64_e64 v[200:201], v[34:35], -v[36:37]
	v_fma_f64 v[198:199], v[72:73], v[198:199], -v[0:1]
	v_mul_f64_e32 v[0:1], v[86:87], v[194:195]
	v_fma_f64 v[194:195], v[84:85], v[194:195], -v[4:5]
	v_add_f64_e64 v[4:5], v[44:45], -v[8:9]
	v_mul_f64_e32 v[8:9], s[2:3], v[56:57]
	v_add_f64_e32 v[232:233], v[34:35], v[36:37]
	v_mul_f64_e32 v[44:45], s[14:15], v[50:51]
	v_mul_f64_e32 v[102:103], s[42:43], v[200:201]
	;; [unrolled: 1-line block ×3, first 2 shown]
	v_fma_f64 v[192:193], v[84:85], v[192:193], v[0:1]
	v_fma_f64 v[0:1], v[251:252], s[16:17], -v[253:254]
	v_add_f64_e64 v[222:223], v[198:199], -v[194:195]
	scratch_store_b64 off, v[8:9], off offset:508 ; 8-byte Folded Spill
	v_fma_f64 v[8:9], v[212:213], s[14:15], v[8:9]
	v_add_f64_e32 v[196:197], v[198:199], v[194:195]
	v_mul_f64_e32 v[214:215], s[26:27], v[232:233]
	v_fma_f64 v[84:85], v[212:213], s[34:35], v[226:227]
	v_add_f64_e32 v[238:239], v[46:47], v[192:193]
	v_add_f64_e32 v[0:1], v[184:185], v[0:1]
	v_add_f64_e64 v[249:250], v[46:47], -v[192:193]
	v_mul_f64_e32 v[180:181], s[44:45], v[222:223]
	v_mul_f64_e32 v[236:237], s[20:21], v[222:223]
	;; [unrolled: 1-line block ×4, first 2 shown]
	v_add_f64_e32 v[0:1], v[2:3], v[0:1]
	v_mul_f64_e32 v[2:3], s[16:17], v[54:55]
	s_delay_alu instid0(VALU_DEP_1) | instskip(NEXT) | instid1(VALU_DEP_1)
	v_fma_f64 v[6:7], v[4:5], s[38:39], v[2:3]
	v_add_f64_e32 v[6:7], v[186:187], v[6:7]
	s_delay_alu instid0(VALU_DEP_1)
	v_add_f64_e32 v[6:7], v[8:9], v[6:7]
	v_mul_f64_e32 v[8:9], s[12:13], v[60:61]
	scratch_store_b64 off, v[8:9], off offset:500 ; 8-byte Folded Spill
	v_fma_f64 v[8:9], v[208:209], s[10:11], -v[8:9]
	s_clause 0x3
	scratch_store_b64 off, v[18:19], off offset:276
	scratch_store_b64 off, v[20:21], off offset:284
	;; [unrolled: 1-line block ×4, first 2 shown]
	v_mul_f64_e32 v[18:19], s[22:23], v[90:91]
	v_mul_f64_e32 v[22:23], s[10:11], v[232:233]
	v_add_f64_e32 v[0:1], v[8:9], v[0:1]
	v_mul_f64_e32 v[8:9], s[10:11], v[76:77]
	scratch_store_b64 off, v[8:9], off offset:524 ; 8-byte Folded Spill
	v_fma_f64 v[8:9], v[224:225], s[12:13], v[8:9]
	s_delay_alu instid0(VALU_DEP_1)
	v_add_f64_e32 v[6:7], v[8:9], v[6:7]
	v_mul_f64_e32 v[8:9], s[20:21], v[78:79]
	scratch_store_b64 off, v[8:9], off offset:516 ; 8-byte Folded Spill
	v_fma_f64 v[8:9], v[216:217], s[18:19], -v[8:9]
	s_clause 0x3
	scratch_store_b64 off, v[26:27], off offset:404
	scratch_store_b64 off, v[28:29], off offset:412
	;; [unrolled: 1-line block ×4, first 2 shown]
	v_mul_f64_e32 v[30:31], s[16:17], v[196:197]
	v_add_f64_e32 v[0:1], v[8:9], v[0:1]
	v_mul_f64_e32 v[8:9], s[18:19], v[90:91]
	scratch_store_b64 off, v[8:9], off offset:540 ; 8-byte Folded Spill
	v_fma_f64 v[8:9], v[234:235], s[20:21], v[8:9]
	s_delay_alu instid0(VALU_DEP_1)
	v_add_f64_e32 v[6:7], v[8:9], v[6:7]
	v_mul_f64_e32 v[8:9], s[24:25], v[200:201]
	scratch_store_b64 off, v[8:9], off offset:532 ; 8-byte Folded Spill
	v_fma_f64 v[8:9], v[228:229], s[22:23], -v[8:9]
	s_clause 0x4
	scratch_store_b64 off, v[34:35], off offset:436
	scratch_store_b64 off, v[36:37], off offset:444
	;; [unrolled: 1-line block ×5, first 2 shown]
	v_mul_f64_e32 v[46:47], s[2:3], v[54:55]
	v_fma_f64 v[54:55], v[212:213], s[30:31], v[190:191]
	v_add_f64_e32 v[0:1], v[8:9], v[0:1]
	v_mul_f64_e32 v[8:9], s[22:23], v[232:233]
	scratch_store_b64 off, v[8:9], off offset:556 ; 8-byte Folded Spill
	v_fma_f64 v[8:9], v[245:246], s[24:25], v[8:9]
	s_delay_alu instid0(VALU_DEP_1) | instskip(SKIP_3) | instid1(VALU_DEP_1)
	v_add_f64_e32 v[6:7], v[8:9], v[6:7]
	v_mul_f64_e32 v[8:9], s[28:29], v[222:223]
	scratch_store_b64 off, v[8:9], off offset:548 ; 8-byte Folded Spill
	v_fma_f64 v[8:9], v[238:239], s[26:27], -v[8:9]
	v_add_f64_e32 v[64:65], v[8:9], v[0:1]
	v_mul_f64_e32 v[0:1], s[26:27], v[196:197]
	scratch_store_b64 off, v[0:1], off offset:564 ; 8-byte Folded Spill
	v_fma_f64 v[0:1], v[249:250], s[28:29], v[0:1]
	global_wb scope:SCOPE_SE
	s_wait_storecnt 0x0
	s_barrier_signal -1
	s_barrier_wait -1
	global_inv scope:SCOPE_SE
	v_add_f64_e32 v[66:67], v[0:1], v[6:7]
	v_fma_f64 v[0:1], v[251:252], s[2:3], -v[44:45]
	v_fma_f64 v[6:7], v[204:205], s[18:19], -v[240:241]
	s_delay_alu instid0(VALU_DEP_2) | instskip(NEXT) | instid1(VALU_DEP_1)
	v_add_f64_e32 v[0:1], v[184:185], v[0:1]
	v_add_f64_e32 v[8:9], v[6:7], v[0:1]
	v_fma_f64 v[0:1], v[4:5], s[14:15], v[46:47]
	v_mul_f64_e32 v[6:7], s[18:19], v[56:57]
	s_delay_alu instid0(VALU_DEP_2) | instskip(NEXT) | instid1(VALU_DEP_2)
	v_add_f64_e32 v[0:1], v[186:187], v[0:1]
	v_fma_f64 v[10:11], v[212:213], s[20:21], v[6:7]
	s_delay_alu instid0(VALU_DEP_1) | instskip(SKIP_1) | instid1(VALU_DEP_1)
	v_add_f64_e32 v[12:13], v[10:11], v[0:1]
	v_mul_f64_e32 v[0:1], s[28:29], v[60:61]
	v_fma_f64 v[10:11], v[208:209], s[26:27], -v[0:1]
	s_delay_alu instid0(VALU_DEP_1) | instskip(SKIP_1) | instid1(VALU_DEP_1)
	v_add_f64_e32 v[14:15], v[10:11], v[8:9]
	v_mul_f64_e32 v[10:11], s[26:27], v[76:77]
	v_fma_f64 v[8:9], v[224:225], s[28:29], v[10:11]
	s_delay_alu instid0(VALU_DEP_1) | instskip(SKIP_1) | instid1(VALU_DEP_1)
	v_add_f64_e32 v[12:13], v[8:9], v[12:13]
	v_mul_f64_e32 v[8:9], s[36:37], v[78:79]
	v_fma_f64 v[16:17], v[216:217], s[22:23], -v[8:9]
	s_delay_alu instid0(VALU_DEP_1) | instskip(SKIP_1) | instid1(VALU_DEP_1)
	v_add_f64_e32 v[16:17], v[16:17], v[14:15]
	v_fma_f64 v[14:15], v[234:235], s[36:37], v[18:19]
	v_add_f64_e32 v[12:13], v[14:15], v[12:13]
	v_mul_f64_e32 v[14:15], s[34:35], v[200:201]
	s_delay_alu instid0(VALU_DEP_1) | instskip(NEXT) | instid1(VALU_DEP_1)
	v_fma_f64 v[20:21], v[228:229], s[10:11], -v[14:15]
	v_add_f64_e32 v[20:21], v[20:21], v[16:17]
	v_fma_f64 v[16:17], v[245:246], s[34:35], v[22:23]
	s_delay_alu instid0(VALU_DEP_1) | instskip(SKIP_1) | instid1(VALU_DEP_1)
	v_add_f64_e32 v[12:13], v[16:17], v[12:13]
	v_mul_f64_e32 v[16:17], s[30:31], v[222:223]
	v_fma_f64 v[24:25], v[238:239], s[16:17], -v[16:17]
	s_delay_alu instid0(VALU_DEP_1) | instskip(SKIP_1) | instid1(VALU_DEP_1)
	v_add_f64_e32 v[68:69], v[24:25], v[20:21]
	v_fma_f64 v[20:21], v[249:250], s[30:31], v[30:31]
	v_add_f64_e32 v[70:71], v[20:21], v[12:13]
	v_fma_f64 v[12:13], v[251:252], s[10:11], -v[182:183]
	s_delay_alu instid0(VALU_DEP_1) | instskip(SKIP_2) | instid1(VALU_DEP_2)
	v_add_f64_e32 v[20:21], v[184:185], v[12:13]
	v_mul_f64_e32 v[12:13], s[28:29], v[52:53]
	v_fma_f64 v[52:53], v[204:205], s[16:17], -v[188:189]
	v_fma_f64 v[24:25], v[204:205], s[26:27], -v[12:13]
	s_delay_alu instid0(VALU_DEP_1) | instskip(SKIP_2) | instid1(VALU_DEP_2)
	v_add_f64_e32 v[26:27], v[24:25], v[20:21]
	v_fma_f64 v[20:21], v[4:5], s[12:13], v[48:49]
	v_mul_f64_e32 v[24:25], s[26:27], v[56:57]
	v_add_f64_e32 v[20:21], v[186:187], v[20:21]
	s_delay_alu instid0(VALU_DEP_2) | instskip(NEXT) | instid1(VALU_DEP_1)
	v_fma_f64 v[28:29], v[212:213], s[28:29], v[24:25]
	v_add_f64_e32 v[28:29], v[28:29], v[20:21]
	v_mul_f64_e32 v[20:21], s[40:41], v[60:61]
	v_mul_f64_e32 v[60:61], s[44:45], v[78:79]
	s_delay_alu instid0(VALU_DEP_2) | instskip(NEXT) | instid1(VALU_DEP_1)
	v_fma_f64 v[32:33], v[208:209], s[18:19], -v[20:21]
	v_add_f64_e32 v[34:35], v[32:33], v[26:27]
	v_mul_f64_e32 v[32:33], s[18:19], v[76:77]
	s_delay_alu instid0(VALU_DEP_1) | instskip(NEXT) | instid1(VALU_DEP_1)
	v_fma_f64 v[26:27], v[224:225], s[40:41], v[32:33]
	v_add_f64_e32 v[28:29], v[26:27], v[28:29]
	v_mul_f64_e32 v[26:27], s[30:31], v[78:79]
	s_delay_alu instid0(VALU_DEP_1) | instskip(NEXT) | instid1(VALU_DEP_1)
	v_fma_f64 v[36:37], v[216:217], s[16:17], -v[26:27]
	v_add_f64_e32 v[36:37], v[36:37], v[34:35]
	v_mul_f64_e32 v[34:35], s[16:17], v[90:91]
	v_mul_f64_e32 v[90:91], s[2:3], v[90:91]
	s_delay_alu instid0(VALU_DEP_2) | instskip(NEXT) | instid1(VALU_DEP_1)
	v_fma_f64 v[38:39], v[234:235], s[30:31], v[34:35]
	v_add_f64_e32 v[40:41], v[38:39], v[28:29]
	v_mul_f64_e32 v[28:29], s[14:15], v[200:201]
	s_delay_alu instid0(VALU_DEP_1) | instskip(NEXT) | instid1(VALU_DEP_1)
	v_fma_f64 v[38:39], v[228:229], s[2:3], -v[28:29]
	v_add_f64_e32 v[42:43], v[38:39], v[36:37]
	v_mul_f64_e32 v[38:39], s[2:3], v[232:233]
	s_delay_alu instid0(VALU_DEP_1) | instskip(NEXT) | instid1(VALU_DEP_1)
	v_fma_f64 v[36:37], v[245:246], s[14:15], v[38:39]
	v_add_f64_e32 v[40:41], v[36:37], v[40:41]
	v_mul_f64_e32 v[36:37], s[24:25], v[222:223]
	s_delay_alu instid0(VALU_DEP_1) | instskip(NEXT) | instid1(VALU_DEP_1)
	v_fma_f64 v[58:59], v[238:239], s[22:23], -v[36:37]
	v_add_f64_e32 v[72:73], v[58:59], v[42:43]
	v_fma_f64 v[42:43], v[249:250], s[24:25], v[202:203]
	v_mul_f64_e32 v[58:59], s[20:21], v[50:51]
	v_fma_f64 v[50:51], v[251:252], s[26:27], -v[98:99]
	s_delay_alu instid0(VALU_DEP_3) | instskip(NEXT) | instid1(VALU_DEP_3)
	v_add_f64_e32 v[74:75], v[42:43], v[40:41]
	v_fma_f64 v[40:41], v[251:252], s[18:19], -v[58:59]
	v_fma_f64 v[42:43], v[204:205], s[22:23], -v[220:221]
	s_delay_alu instid0(VALU_DEP_4) | instskip(NEXT) | instid1(VALU_DEP_3)
	v_add_f64_e32 v[50:51], v[184:185], v[50:51]
	v_add_f64_e32 v[40:41], v[184:185], v[40:41]
	s_delay_alu instid0(VALU_DEP_2) | instskip(SKIP_1) | instid1(VALU_DEP_3)
	v_add_f64_e32 v[50:51], v[52:53], v[50:51]
	v_fma_f64 v[52:53], v[4:5], s[28:29], v[96:97]
	v_add_f64_e32 v[40:41], v[42:43], v[40:41]
	v_fma_f64 v[42:43], v[4:5], s[20:21], v[62:63]
	s_delay_alu instid0(VALU_DEP_3) | instskip(NEXT) | instid1(VALU_DEP_2)
	v_add_f64_e32 v[52:53], v[186:187], v[52:53]
	v_add_f64_e32 v[42:43], v[186:187], v[42:43]
	s_delay_alu instid0(VALU_DEP_2) | instskip(SKIP_1) | instid1(VALU_DEP_3)
	v_add_f64_e32 v[52:53], v[54:55], v[52:53]
	v_fma_f64 v[54:55], v[208:209], s[22:23], -v[247:248]
	v_add_f64_e32 v[42:43], v[80:81], v[42:43]
	v_fma_f64 v[80:81], v[208:209], s[16:17], -v[136:137]
	s_delay_alu instid0(VALU_DEP_3) | instskip(NEXT) | instid1(VALU_DEP_2)
	v_add_f64_e32 v[50:51], v[54:55], v[50:51]
	v_add_f64_e32 v[40:41], v[80:81], v[40:41]
	v_fma_f64 v[80:81], v[224:225], s[30:31], v[138:139]
	s_delay_alu instid0(VALU_DEP_1) | instskip(SKIP_1) | instid1(VALU_DEP_1)
	v_add_f64_e32 v[42:43], v[80:81], v[42:43]
	v_fma_f64 v[80:81], v[216:217], s[10:11], -v[206:207]
	v_add_f64_e32 v[40:41], v[80:81], v[40:41]
	v_fma_f64 v[80:81], v[234:235], s[12:13], v[210:211]
	s_delay_alu instid0(VALU_DEP_1) | instskip(SKIP_1) | instid1(VALU_DEP_1)
	v_add_f64_e32 v[42:43], v[80:81], v[42:43]
	v_fma_f64 v[80:81], v[228:229], s[26:27], -v[102:103]
	v_add_f64_e32 v[40:41], v[80:81], v[40:41]
	v_fma_f64 v[80:81], v[245:246], s[42:43], v[214:215]
	s_delay_alu instid0(VALU_DEP_1) | instskip(SKIP_1) | instid1(VALU_DEP_1)
	v_add_f64_e32 v[42:43], v[80:81], v[42:43]
	v_fma_f64 v[80:81], v[238:239], s[2:3], -v[180:181]
	v_add_f64_e32 v[80:81], v[80:81], v[40:41]
	v_fma_f64 v[40:41], v[249:250], s[44:45], v[162:163]
	s_delay_alu instid0(VALU_DEP_1) | instskip(SKIP_2) | instid1(VALU_DEP_2)
	v_add_f64_e32 v[82:83], v[40:41], v[42:43]
	v_fma_f64 v[40:41], v[251:252], s[22:23], -v[242:243]
	v_fma_f64 v[42:43], v[204:205], s[10:11], -v[104:105]
	v_add_f64_e32 v[40:41], v[184:185], v[40:41]
	s_delay_alu instid0(VALU_DEP_1) | instskip(SKIP_1) | instid1(VALU_DEP_1)
	v_add_f64_e32 v[40:41], v[42:43], v[40:41]
	v_fma_f64 v[42:43], v[4:5], s[24:25], v[94:95]
	v_add_f64_e32 v[42:43], v[186:187], v[42:43]
	s_delay_alu instid0(VALU_DEP_1) | instskip(SKIP_1) | instid1(VALU_DEP_1)
	v_add_f64_e32 v[42:43], v[84:85], v[42:43]
	v_fma_f64 v[84:85], v[208:209], s[2:3], -v[160:161]
	v_add_f64_e32 v[40:41], v[84:85], v[40:41]
	v_fma_f64 v[84:85], v[224:225], s[14:15], v[230:231]
	s_delay_alu instid0(VALU_DEP_1) | instskip(SKIP_1) | instid1(VALU_DEP_1)
	v_add_f64_e32 v[42:43], v[84:85], v[42:43]
	v_fma_f64 v[84:85], v[216:217], s[26:27], -v[218:219]
	v_add_f64_e32 v[40:41], v[84:85], v[40:41]
	v_fma_f64 v[84:85], v[234:235], s[42:43], v[88:89]
	s_delay_alu instid0(VALU_DEP_1) | instskip(SKIP_1) | instid1(VALU_DEP_1)
	v_add_f64_e32 v[42:43], v[84:85], v[42:43]
	v_fma_f64 v[84:85], v[228:229], s[16:17], -v[106:107]
	v_add_f64_e32 v[84:85], v[84:85], v[40:41]
	v_mul_f64_e32 v[40:41], s[16:17], v[232:233]
	s_delay_alu instid0(VALU_DEP_1) | instskip(NEXT) | instid1(VALU_DEP_1)
	v_fma_f64 v[86:87], v[245:246], s[30:31], v[40:41]
	v_add_f64_e32 v[86:87], v[86:87], v[42:43]
	v_fma_f64 v[42:43], v[238:239], s[18:19], -v[236:237]
	s_delay_alu instid0(VALU_DEP_1) | instskip(SKIP_1) | instid1(VALU_DEP_1)
	v_add_f64_e32 v[84:85], v[42:43], v[84:85]
	v_mul_f64_e32 v[42:43], s[18:19], v[196:197]
	v_fma_f64 v[92:93], v[249:250], s[20:21], v[42:43]
	s_delay_alu instid0(VALU_DEP_1) | instskip(SKIP_1) | instid1(VALU_DEP_1)
	v_add_f64_e32 v[86:87], v[92:93], v[86:87]
	v_mul_f64_e32 v[92:93], s[22:23], v[76:77]
	v_fma_f64 v[54:55], v[224:225], s[24:25], v[92:93]
	s_delay_alu instid0(VALU_DEP_1) | instskip(SKIP_1) | instid1(VALU_DEP_1)
	v_add_f64_e32 v[52:53], v[54:55], v[52:53]
	v_fma_f64 v[54:55], v[216:217], s[2:3], -v[60:61]
	v_add_f64_e32 v[50:51], v[54:55], v[50:51]
	v_fma_f64 v[54:55], v[234:235], s[44:45], v[90:91]
	s_delay_alu instid0(VALU_DEP_1) | instskip(SKIP_1) | instid1(VALU_DEP_1)
	v_add_f64_e32 v[52:53], v[54:55], v[52:53]
	v_mul_f64_e32 v[54:55], s[20:21], v[200:201]
	v_fma_f64 v[56:57], v[228:229], s[18:19], -v[54:55]
	s_delay_alu instid0(VALU_DEP_1) | instskip(SKIP_1) | instid1(VALU_DEP_1)
	v_add_f64_e32 v[76:77], v[56:57], v[50:51]
	v_mul_f64_e32 v[56:57], s[18:19], v[232:233]
	v_fma_f64 v[50:51], v[245:246], s[20:21], v[56:57]
	s_delay_alu instid0(VALU_DEP_1) | instskip(SKIP_2) | instid1(VALU_DEP_2)
	v_add_f64_e32 v[78:79], v[50:51], v[52:53]
	v_mul_f64_e32 v[50:51], s[34:35], v[222:223]
	v_mul_f64_e32 v[52:53], s[10:11], v[196:197]
	v_fma_f64 v[196:197], v[238:239], s[10:11], -v[50:51]
	s_delay_alu instid0(VALU_DEP_1) | instskip(NEXT) | instid1(VALU_DEP_3)
	v_add_f64_e32 v[76:77], v[196:197], v[76:77]
	v_fma_f64 v[196:197], v[249:250], s[34:35], v[52:53]
	s_delay_alu instid0(VALU_DEP_1)
	v_add_f64_e32 v[78:79], v[196:197], v[78:79]
	s_and_saveexec_b32 s33, s0
	s_cbranch_execz .LBB0_25
; %bb.24:
	v_mul_f64_e32 v[196:197], s[28:29], v[4:5]
	s_clause 0x1
	scratch_load_b64 v[200:201], off, off offset:468 th:TH_LOAD_LU
	scratch_load_b64 v[222:223], off, off offset:476 th:TH_LOAD_LU
	v_add_f64_e64 v[96:97], v[96:97], -v[196:197]
	v_mul_f64_e32 v[196:197], s[26:27], v[251:252]
	s_delay_alu instid0(VALU_DEP_2) | instskip(NEXT) | instid1(VALU_DEP_2)
	v_add_f64_e32 v[96:97], v[186:187], v[96:97]
	v_add_f64_e32 v[98:99], v[196:197], v[98:99]
	v_mul_f64_e32 v[196:197], s[24:25], v[4:5]
	s_delay_alu instid0(VALU_DEP_2) | instskip(NEXT) | instid1(VALU_DEP_2)
	v_add_f64_e32 v[98:99], v[184:185], v[98:99]
	v_add_f64_e64 v[94:95], v[94:95], -v[196:197]
	v_mul_f64_e32 v[196:197], s[20:21], v[4:5]
	s_delay_alu instid0(VALU_DEP_2) | instskip(NEXT) | instid1(VALU_DEP_2)
	v_add_f64_e32 v[94:95], v[186:187], v[94:95]
	v_add_f64_e64 v[62:63], v[62:63], -v[196:197]
	v_mul_f64_e32 v[196:197], s[18:19], v[251:252]
	s_delay_alu instid0(VALU_DEP_2) | instskip(NEXT) | instid1(VALU_DEP_2)
	v_add_f64_e32 v[62:63], v[186:187], v[62:63]
	v_add_f64_e32 v[58:59], v[196:197], v[58:59]
	v_mul_f64_e32 v[196:197], s[12:13], v[4:5]
	s_delay_alu instid0(VALU_DEP_2) | instskip(NEXT) | instid1(VALU_DEP_2)
	v_add_f64_e32 v[58:59], v[184:185], v[58:59]
	v_add_f64_e64 v[48:49], v[48:49], -v[196:197]
	v_mul_f64_e32 v[196:197], s[10:11], v[251:252]
	s_delay_alu instid0(VALU_DEP_2) | instskip(NEXT) | instid1(VALU_DEP_2)
	v_add_f64_e32 v[48:49], v[186:187], v[48:49]
	v_add_f64_e32 v[182:183], v[196:197], v[182:183]
	v_mul_f64_e32 v[196:197], s[14:15], v[4:5]
	v_mul_f64_e32 v[4:5], s[38:39], v[4:5]
	s_delay_alu instid0(VALU_DEP_3) | instskip(NEXT) | instid1(VALU_DEP_3)
	v_add_f64_e32 v[182:183], v[184:185], v[182:183]
	v_add_f64_e64 v[46:47], v[46:47], -v[196:197]
	v_mul_f64_e32 v[196:197], s[2:3], v[251:252]
	s_delay_alu instid0(VALU_DEP_4)
	v_add_f64_e64 v[2:3], v[2:3], -v[4:5]
	v_mul_f64_e32 v[4:5], s[16:17], v[251:252]
	s_wait_loadcnt 0x1
	v_add_f64_e32 v[200:201], v[186:187], v[200:201]
	s_wait_loadcnt 0x0
	v_add_f64_e32 v[222:223], v[184:185], v[222:223]
	v_add_f64_e32 v[46:47], v[186:187], v[46:47]
	;; [unrolled: 1-line block ×3, first 2 shown]
	v_mul_f64_e32 v[196:197], s[22:23], v[251:252]
	v_add_f64_e32 v[4:5], v[4:5], v[253:254]
	v_add_f64_e32 v[186:187], v[186:187], v[2:3]
	v_mul_f64_e32 v[2:3], s[30:31], v[212:213]
	v_add_f64_e32 v[44:45], v[184:185], v[44:45]
	v_add_f64_e32 v[196:197], v[196:197], v[242:243]
	s_delay_alu instid0(VALU_DEP_3) | instskip(SKIP_1) | instid1(VALU_DEP_3)
	v_add_f64_e64 v[2:3], v[190:191], -v[2:3]
	v_mul_f64_e32 v[190:191], s[44:45], v[234:235]
	v_add_f64_e32 v[196:197], v[184:185], v[196:197]
	v_add_f64_e32 v[184:185], v[184:185], v[4:5]
	v_mul_f64_e32 v[4:5], s[16:17], v[204:205]
	v_add_f64_e32 v[2:3], v[2:3], v[96:97]
	v_add_f64_e64 v[90:91], v[90:91], -v[190:191]
	v_mul_f64_e32 v[190:191], s[2:3], v[216:217]
	v_mul_f64_e32 v[96:97], s[18:19], v[228:229]
	v_add_f64_e32 v[4:5], v[4:5], v[188:189]
	v_mul_f64_e32 v[188:189], s[24:25], v[224:225]
	s_delay_alu instid0(VALU_DEP_4)
	v_add_f64_e32 v[60:61], v[190:191], v[60:61]
	v_mul_f64_e32 v[190:191], s[20:21], v[245:246]
	v_add_f64_e32 v[54:55], v[96:97], v[54:55]
	v_add_f64_e32 v[4:5], v[4:5], v[98:99]
	v_add_f64_e64 v[92:93], v[92:93], -v[188:189]
	v_mul_f64_e32 v[188:189], s[22:23], v[208:209]
	v_add_f64_e64 v[56:57], v[56:57], -v[190:191]
	s_delay_alu instid0(VALU_DEP_3) | instskip(NEXT) | instid1(VALU_DEP_3)
	v_add_f64_e32 v[2:3], v[92:93], v[2:3]
	v_add_f64_e32 v[188:189], v[188:189], v[247:248]
	v_mul_f64_e32 v[92:93], s[34:35], v[249:250]
	s_delay_alu instid0(VALU_DEP_3) | instskip(NEXT) | instid1(VALU_DEP_3)
	v_add_f64_e32 v[2:3], v[90:91], v[2:3]
	v_add_f64_e32 v[4:5], v[188:189], v[4:5]
	s_delay_alu instid0(VALU_DEP_3) | instskip(NEXT) | instid1(VALU_DEP_3)
	v_add_f64_e64 v[52:53], v[52:53], -v[92:93]
	v_add_f64_e32 v[2:3], v[56:57], v[2:3]
	s_delay_alu instid0(VALU_DEP_3)
	v_add_f64_e32 v[4:5], v[60:61], v[4:5]
	v_mul_f64_e32 v[60:61], s[10:11], v[238:239]
	scratch_load_b64 v[56:57], off, off offset:532 th:TH_LOAD_LU ; 8-byte Folded Reload
	v_add_f64_e32 v[54:55], v[54:55], v[4:5]
	v_add_f64_e32 v[50:51], v[60:61], v[50:51]
	;; [unrolled: 1-line block ×3, first 2 shown]
	v_mul_f64_e32 v[52:53], s[28:29], v[224:225]
	s_delay_alu instid0(VALU_DEP_3) | instskip(SKIP_1) | instid1(VALU_DEP_3)
	v_add_f64_e32 v[2:3], v[50:51], v[54:55]
	v_mul_f64_e32 v[50:51], s[20:21], v[212:213]
	v_add_f64_e64 v[10:11], v[10:11], -v[52:53]
	v_mul_f64_e32 v[52:53], s[26:27], v[208:209]
	scratch_load_b64 v[54:55], off, off offset:556 th:TH_LOAD_LU ; 8-byte Folded Reload
	v_add_f64_e64 v[6:7], v[6:7], -v[50:51]
	v_mul_f64_e32 v[50:51], s[18:19], v[204:205]
	v_add_f64_e32 v[0:1], v[52:53], v[0:1]
	v_mul_f64_e32 v[52:53], s[36:37], v[234:235]
	s_delay_alu instid0(VALU_DEP_4) | instskip(NEXT) | instid1(VALU_DEP_4)
	v_add_f64_e32 v[6:7], v[6:7], v[46:47]
	v_add_f64_e32 v[50:51], v[50:51], v[240:241]
	v_mul_f64_e32 v[46:47], s[10:11], v[228:229]
	s_delay_alu instid0(VALU_DEP_4)
	v_add_f64_e64 v[18:19], v[18:19], -v[52:53]
	v_mul_f64_e32 v[52:53], s[22:23], v[216:217]
	v_add_f64_e32 v[6:7], v[10:11], v[6:7]
	v_add_f64_e32 v[44:45], v[50:51], v[44:45]
	;; [unrolled: 1-line block ×3, first 2 shown]
	scratch_load_b64 v[46:47], off, off offset:524 th:TH_LOAD_LU ; 8-byte Folded Reload
	v_add_f64_e32 v[8:9], v[52:53], v[8:9]
	v_mul_f64_e32 v[52:53], s[34:35], v[245:246]
	v_mul_f64_e32 v[10:11], s[30:31], v[249:250]
	scratch_load_b64 v[50:51], off, off offset:540 th:TH_LOAD_LU ; 8-byte Folded Reload
	v_add_f64_e32 v[6:7], v[18:19], v[6:7]
	v_add_f64_e32 v[0:1], v[0:1], v[44:45]
	scratch_load_b64 v[44:45], off, off offset:492 th:TH_LOAD_LU ; 8-byte Folded Reload
	v_mul_f64_e32 v[18:19], s[16:17], v[216:217]
	v_add_f64_e64 v[22:23], v[22:23], -v[52:53]
	v_add_f64_e64 v[10:11], v[30:31], -v[10:11]
	scratch_load_b64 v[52:53], off, off offset:516 th:TH_LOAD_LU ; 8-byte Folded Reload
	v_mul_f64_e32 v[30:31], s[16:17], v[228:229]
	v_add_f64_e32 v[0:1], v[8:9], v[0:1]
	v_mul_f64_e32 v[8:9], s[16:17], v[238:239]
	v_add_f64_e32 v[18:19], v[18:19], v[26:27]
	;; [unrolled: 2-line block ×4, first 2 shown]
	v_add_f64_e32 v[0:1], v[14:15], v[0:1]
	v_mul_f64_e32 v[14:15], s[18:19], v[208:209]
	v_add_f64_e32 v[16:17], v[8:9], v[16:17]
	v_add_f64_e32 v[26:27], v[26:27], v[102:103]
	;; [unrolled: 1-line block ×3, first 2 shown]
	v_mul_f64_e32 v[10:11], s[26:27], v[204:205]
	v_add_f64_e32 v[22:23], v[22:23], v[28:29]
	v_mul_f64_e32 v[28:29], s[30:31], v[245:246]
	v_add_f64_e32 v[14:15], v[14:15], v[20:21]
	;; [unrolled: 2-line block ×4, first 2 shown]
	v_mul_f64_e32 v[12:13], s[40:41], v[224:225]
	v_add_f64_e64 v[28:29], v[40:41], -v[28:29]
	scratch_load_b64 v[40:41], off, off offset:268 th:TH_LOAD_LU ; 8-byte Folded Reload
	v_mul_f64_e32 v[16:17], s[30:31], v[234:235]
	v_add_f64_e64 v[20:21], v[38:39], -v[20:21]
	scratch_load_b64 v[38:39], off, off offset:508 th:TH_LOAD_LU ; 8-byte Folded Reload
	v_add_f64_e64 v[0:1], v[24:25], -v[0:1]
	v_add_f64_e32 v[10:11], v[10:11], v[182:183]
	v_add_f64_e64 v[12:13], v[32:33], -v[12:13]
	v_mul_f64_e32 v[32:33], s[20:21], v[249:250]
	v_mul_f64_e32 v[24:25], s[42:43], v[245:246]
	v_add_f64_e64 v[16:17], v[34:35], -v[16:17]
	v_mul_f64_e32 v[34:35], s[18:19], v[238:239]
	v_add_f64_e32 v[0:1], v[0:1], v[48:49]
	v_add_f64_e32 v[10:11], v[14:15], v[10:11]
	v_mul_f64_e32 v[14:15], s[22:23], v[238:239]
	v_add_f64_e64 v[32:33], v[42:43], -v[32:33]
	v_mul_f64_e32 v[42:43], s[2:3], v[204:205]
	scratch_load_b64 v[48:49], off, off offset:500 th:TH_LOAD_LU ; 8-byte Folded Reload
	v_add_f64_e64 v[24:25], v[214:215], -v[24:25]
	v_add_f64_e32 v[34:35], v[34:35], v[236:237]
	v_add_f64_e32 v[0:1], v[12:13], v[0:1]
	v_mul_f64_e32 v[12:13], s[24:25], v[249:250]
	v_add_f64_e32 v[14:15], v[14:15], v[36:37]
	v_mul_f64_e32 v[36:37], s[14:15], v[212:213]
	;; [unrolled: 2-line block ×3, first 2 shown]
	v_add_f64_e32 v[0:1], v[16:17], v[0:1]
	v_add_f64_e64 v[12:13], v[202:203], -v[12:13]
	v_mul_f64_e32 v[16:17], s[30:31], v[224:225]
	v_add_f64_e32 v[10:11], v[22:23], v[10:11]
	v_add_f64_e32 v[18:19], v[18:19], v[136:137]
	v_mul_f64_e32 v[22:23], s[10:11], v[216:217]
	v_add_f64_e32 v[0:1], v[20:21], v[0:1]
	v_mul_f64_e32 v[20:21], s[12:13], v[234:235]
	v_add_f64_e64 v[16:17], v[138:139], -v[16:17]
	v_add_f64_e32 v[10:11], v[14:15], v[10:11]
	v_mul_f64_e32 v[14:15], s[22:23], v[204:205]
	v_add_f64_e32 v[22:23], v[22:23], v[206:207]
	s_wait_loadcnt 0x4
	v_add_f64_e32 v[42:43], v[42:43], v[44:45]
	scratch_load_b64 v[44:45], off, off offset:276 th:TH_LOAD_LU ; 8-byte Folded Reload
	v_add_f64_e32 v[12:13], v[12:13], v[0:1]
	v_mul_f64_e32 v[0:1], s[36:37], v[212:213]
	v_add_f64_e64 v[20:21], v[210:211], -v[20:21]
	v_add_f64_e32 v[14:15], v[14:15], v[220:221]
	v_add_f64_e32 v[42:43], v[42:43], v[184:185]
	s_delay_alu instid0(VALU_DEP_4) | instskip(NEXT) | instid1(VALU_DEP_3)
	v_add_f64_e64 v[0:1], v[100:101], -v[0:1]
	v_add_f64_e32 v[14:15], v[14:15], v[58:59]
	s_delay_alu instid0(VALU_DEP_2) | instskip(NEXT) | instid1(VALU_DEP_2)
	v_add_f64_e32 v[0:1], v[0:1], v[62:63]
	v_add_f64_e32 v[14:15], v[18:19], v[14:15]
	v_mul_f64_e32 v[18:19], s[2:3], v[238:239]
	s_wait_loadcnt 0x3
	v_add_f64_e32 v[40:41], v[222:223], v[40:41]
	s_delay_alu instid0(VALU_DEP_4)
	v_add_f64_e32 v[0:1], v[16:17], v[0:1]
	v_mul_f64_e32 v[16:17], s[44:45], v[249:250]
	v_add_f64_e32 v[14:15], v[22:23], v[14:15]
	v_add_f64_e32 v[18:19], v[18:19], v[180:181]
	v_mul_f64_e32 v[22:23], s[2:3], v[208:209]
	s_wait_loadcnt 0x2
	v_add_f64_e64 v[36:37], v[38:39], -v[36:37]
	scratch_load_b64 v[38:39], off, off offset:252 th:TH_LOAD_LU ; 8-byte Folded Reload
	v_add_f64_e32 v[0:1], v[20:21], v[0:1]
	v_add_f64_e64 v[16:17], v[162:163], -v[16:17]
	v_mul_f64_e32 v[20:21], s[14:15], v[224:225]
	v_add_f64_e32 v[14:15], v[26:27], v[14:15]
	v_mul_f64_e32 v[26:27], s[26:27], v[216:217]
	v_add_f64_e32 v[22:23], v[22:23], v[160:161]
	v_add_f64_e32 v[36:37], v[36:37], v[186:187]
	;; [unrolled: 1-line block ×3, first 2 shown]
	v_mul_f64_e32 v[24:25], s[42:43], v[234:235]
	v_add_f64_e64 v[20:21], v[230:231], -v[20:21]
	v_add_f64_e32 v[14:15], v[18:19], v[14:15]
	v_mul_f64_e32 v[18:19], s[10:11], v[204:205]
	v_add_f64_e32 v[26:27], v[26:27], v[218:219]
	v_add_f64_e32 v[16:17], v[16:17], v[0:1]
	v_mul_f64_e32 v[0:1], s[34:35], v[212:213]
	v_add_f64_e64 v[24:25], v[88:89], -v[24:25]
	v_add_f64_e32 v[18:19], v[18:19], v[104:105]
	s_delay_alu instid0(VALU_DEP_3) | instskip(NEXT) | instid1(VALU_DEP_2)
	v_add_f64_e64 v[0:1], v[226:227], -v[0:1]
	v_add_f64_e32 v[18:19], v[18:19], v[196:197]
	s_delay_alu instid0(VALU_DEP_2) | instskip(NEXT) | instid1(VALU_DEP_2)
	v_add_f64_e32 v[0:1], v[0:1], v[94:95]
	v_add_f64_e32 v[18:19], v[22:23], v[18:19]
	s_delay_alu instid0(VALU_DEP_2) | instskip(NEXT) | instid1(VALU_DEP_2)
	v_add_f64_e32 v[0:1], v[20:21], v[0:1]
	v_add_f64_e32 v[18:19], v[26:27], v[18:19]
	s_delay_alu instid0(VALU_DEP_2) | instskip(SKIP_3) | instid1(VALU_DEP_2)
	v_add_f64_e32 v[0:1], v[24:25], v[0:1]
	scratch_load_b64 v[24:25], off, off offset:284 th:TH_LOAD_LU ; 8-byte Folded Reload
	v_add_f64_e32 v[18:19], v[30:31], v[18:19]
	v_add_f64_e32 v[0:1], v[28:29], v[0:1]
	;; [unrolled: 1-line block ×3, first 2 shown]
	s_wait_loadcnt 0x1
	v_add_f64_e32 v[38:39], v[200:201], v[38:39]
	s_delay_alu instid0(VALU_DEP_1) | instskip(SKIP_4) | instid1(VALU_DEP_1)
	v_add_f64_e32 v[38:39], v[38:39], v[44:45]
	scratch_load_b64 v[44:45], off, off offset:396 th:TH_LOAD_LU ; 8-byte Folded Reload
	s_wait_loadcnt 0x0
	v_add_f64_e32 v[40:41], v[40:41], v[44:45]
	v_mul_f64_e32 v[44:45], s[12:13], v[224:225]
	v_add_f64_e64 v[44:45], v[46:47], -v[44:45]
	scratch_load_b64 v[46:47], off, off offset:404 th:TH_LOAD_LU ; 8-byte Folded Reload
	v_add_f64_e32 v[20:21], v[44:45], v[36:37]
	s_clause 0x1
	scratch_load_b64 v[36:37], off, off offset:412 th:TH_LOAD_LU
	scratch_load_b64 v[26:27], off, off offset:292 th:TH_LOAD_LU
	s_wait_loadcnt 0x2
	v_add_f64_e32 v[38:39], v[38:39], v[46:47]
	scratch_load_b64 v[46:47], off, off offset:428 th:TH_LOAD_LU ; 8-byte Folded Reload
	s_wait_loadcnt 0x0
	v_add_f64_e32 v[40:41], v[40:41], v[46:47]
	v_mul_f64_e32 v[46:47], s[10:11], v[208:209]
	s_delay_alu instid0(VALU_DEP_1)
	v_add_f64_e32 v[46:47], v[46:47], v[48:49]
	scratch_load_b64 v[48:49], off, off offset:436 th:TH_LOAD_LU ; 8-byte Folded Reload
	v_add_f64_e32 v[22:23], v[46:47], v[42:43]
	scratch_load_b64 v[42:43], off, off offset:564 th:TH_LOAD_LU ; 8-byte Folded Reload
	s_wait_loadcnt 0x1
	v_add_f64_e32 v[38:39], v[38:39], v[48:49]
	scratch_load_b64 v[48:49], off, off offset:460 th:TH_LOAD_LU ; 8-byte Folded Reload
	v_add_f64_e32 v[38:39], v[38:39], v[198:199]
	s_delay_alu instid0(VALU_DEP_1) | instskip(SKIP_3) | instid1(VALU_DEP_1)
	v_add_f64_e32 v[38:39], v[38:39], v[194:195]
	s_wait_loadcnt 0x0
	v_add_f64_e32 v[40:41], v[40:41], v[48:49]
	v_mul_f64_e32 v[48:49], s[20:21], v[234:235]
	v_add_f64_e64 v[48:49], v[50:51], -v[48:49]
	scratch_load_b64 v[50:51], off, off offset:484 th:TH_LOAD_LU ; 8-byte Folded Reload
	v_add_f64_e32 v[20:21], v[48:49], v[20:21]
	s_wait_loadcnt 0x0
	v_add_f64_e32 v[40:41], v[40:41], v[50:51]
	v_mul_f64_e32 v[50:51], s[18:19], v[216:217]
	s_delay_alu instid0(VALU_DEP_2) | instskip(NEXT) | instid1(VALU_DEP_2)
	v_add_f64_e32 v[40:41], v[40:41], v[192:193]
	v_add_f64_e32 v[50:51], v[50:51], v[52:53]
	v_mul_f64_e32 v[52:53], s[24:25], v[245:246]
	s_delay_alu instid0(VALU_DEP_2) | instskip(NEXT) | instid1(VALU_DEP_2)
	v_add_f64_e32 v[22:23], v[50:51], v[22:23]
	v_add_f64_e64 v[52:53], v[54:55], -v[52:53]
	scratch_load_b64 v[54:55], off, off offset:444 th:TH_LOAD_LU ; 8-byte Folded Reload
	v_add_f64_e32 v[28:29], v[52:53], v[20:21]
	scratch_load_b64 v[20:21], off, off offset:228 th:TH_LOAD_LU ; 8-byte Folded Reload
	s_wait_loadcnt 0x1
	v_add_f64_e32 v[38:39], v[38:39], v[54:55]
	scratch_load_b64 v[54:55], off, off offset:452 th:TH_LOAD_LU ; 8-byte Folded Reload
	v_add_f64_e32 v[36:37], v[38:39], v[36:37]
	scratch_load_b64 v[38:39], off, off offset:420 th:TH_LOAD_LU ; 8-byte Folded Reload
	v_add_f64_e32 v[24:25], v[36:37], v[24:25]
	v_mul_f64_e32 v[36:37], s[26:27], v[238:239]
	s_wait_loadcnt 0x2
	s_delay_alu instid0(VALU_DEP_2)
	v_add_f64_e32 v[30:31], v[24:25], v[20:21]
	scratch_load_b64 v[20:21], off, off offset:236 th:TH_LOAD_LU ; 8-byte Folded Reload
	s_wait_loadcnt 0x2
	v_add_f64_e32 v[40:41], v[40:41], v[54:55]
	v_mul_f64_e32 v[54:55], s[22:23], v[228:229]
	s_wait_loadcnt 0x1
	s_delay_alu instid0(VALU_DEP_2) | instskip(SKIP_1) | instid1(VALU_DEP_2)
	v_add_f64_e32 v[38:39], v[40:41], v[38:39]
	v_mul_f64_e32 v[40:41], s[28:29], v[249:250]
	v_add_f64_e32 v[26:27], v[38:39], v[26:27]
	scratch_load_b64 v[38:39], off, off offset:548 th:TH_LOAD_LU ; 8-byte Folded Reload
	v_add_f64_e64 v[40:41], v[42:43], -v[40:41]
	s_wait_loadcnt 0x1
	v_add_f64_e32 v[26:27], v[26:27], v[20:21]
	v_add_f64_e32 v[20:21], v[32:33], v[0:1]
	scratch_load_b64 v[0:1], off, off offset:204 th:TH_LOAD_LU ; 8-byte Folded Reload
	v_add_f64_e32 v[24:25], v[40:41], v[28:29]
	s_wait_loadcnt 0x1
	v_add_f64_e32 v[36:37], v[36:37], v[38:39]
	s_wait_loadcnt 0x0
	v_add_f64_e32 v[28:29], v[30:31], v[0:1]
	scratch_load_b64 v[0:1], off, off offset:220 th:TH_LOAD_LU ; 8-byte Folded Reload
	s_wait_loadcnt 0x0
	v_add_f64_e32 v[26:27], v[26:27], v[0:1]
	s_clause 0x1
	scratch_load_b32 v0, off, off offset:200 th:TH_LOAD_LU
	scratch_load_b32 v1, off, off offset:196 th:TH_LOAD_LU
	v_add_f64_e32 v[54:55], v[54:55], v[56:57]
	s_delay_alu instid0(VALU_DEP_1) | instskip(NEXT) | instid1(VALU_DEP_1)
	v_add_f64_e32 v[22:23], v[54:55], v[22:23]
	v_add_f64_e32 v[22:23], v[36:37], v[22:23]
	s_wait_loadcnt 0x1
	v_mul_u32_u24_e32 v0, 26, v0
	s_wait_loadcnt 0x0
	s_delay_alu instid0(VALU_DEP_1) | instskip(NEXT) | instid1(VALU_DEP_1)
	v_or_b32_e32 v0, v0, v1
	v_lshlrev_b32_e32 v0, 4, v0
	ds_store_b128 v0, v[84:87] offset:256
	ds_store_b128 v0, v[80:83] offset:288
	;; [unrolled: 1-line block ×11, first 2 shown]
	ds_store_b128 v0, v[26:29]
	ds_store_b128 v0, v[64:67] offset:384
.LBB0_25:
	s_or_b32 exec_lo, exec_lo, s33
	global_wb scope:SCOPE_SE
	s_wait_dscnt 0x0
	s_barrier_signal -1
	s_barrier_wait -1
	global_inv scope:SCOPE_SE
	ds_load_b128 v[88:91], v255
	ds_load_b128 v[136:139], v255 offset:4576
	ds_load_b128 v[104:107], v255 offset:9152
	;; [unrolled: 1-line block ×6, first 2 shown]
	s_and_saveexec_b32 s0, s1
	s_cbranch_execz .LBB0_27
; %bb.26:
	ds_load_b128 v[76:79], v255 offset:2912
	ds_load_b128 v[84:87], v255 offset:7488
	;; [unrolled: 1-line block ×7, first 2 shown]
	s_wait_dscnt 0x0
	scratch_store_b128 off, v[0:3], off offset:12 ; 16-byte Folded Spill
.LBB0_27:
	s_wait_alu 0xfffe
	s_or_b32 exec_lo, exec_lo, s0
	s_wait_dscnt 0x5
	v_mul_f64_e32 v[2:3], v[122:123], v[136:137]
	s_wait_dscnt 0x4
	v_mul_f64_e32 v[6:7], v[118:119], v[104:105]
	;; [unrolled: 2-line block ×3, first 2 shown]
	v_mul_f64_e32 v[14:15], v[110:111], v[100:101]
	v_mul_f64_e32 v[0:1], v[122:123], v[138:139]
	;; [unrolled: 1-line block ×9, first 2 shown]
	s_mov_b32 s10, 0x37e14327
	s_mov_b32 s14, 0xe976ee23
	;; [unrolled: 1-line block ×17, first 2 shown]
	s_wait_alu 0xfffe
	s_mov_b32 s20, s16
	s_mov_b32 s24, s22
	s_mov_b32 s27, 0xbfdc38aa
	global_wb scope:SCOPE_SE
	s_wait_storecnt 0x0
	s_barrier_signal -1
	s_barrier_wait -1
	global_inv scope:SCOPE_SE
	v_fma_f64 v[2:3], v[120:121], v[138:139], -v[2:3]
	v_fma_f64 v[6:7], v[116:117], v[106:107], -v[6:7]
	;; [unrolled: 1-line block ×4, first 2 shown]
	v_fma_f64 v[0:1], v[120:121], v[136:137], v[0:1]
	v_fma_f64 v[4:5], v[116:117], v[104:105], v[4:5]
	;; [unrolled: 1-line block ×5, first 2 shown]
	v_fma_f64 v[18:19], v[152:153], v[98:99], -v[18:19]
	v_fma_f64 v[20:21], v[148:149], v[92:93], v[20:21]
	v_fma_f64 v[22:23], v[148:149], v[94:95], -v[22:23]
	v_add_f64_e32 v[26:27], v[2:3], v[10:11]
	v_add_f64_e32 v[30:31], v[6:7], v[14:15]
	v_add_f64_e64 v[6:7], v[6:7], -v[14:15]
	v_add_f64_e64 v[10:11], v[2:3], -v[10:11]
	v_add_f64_e32 v[24:25], v[0:1], v[8:9]
	v_add_f64_e32 v[28:29], v[4:5], v[12:13]
	v_add_f64_e64 v[4:5], v[4:5], -v[12:13]
	v_add_f64_e64 v[8:9], v[0:1], -v[8:9]
	;; [unrolled: 4-line block ×3, first 2 shown]
	v_add_f64_e32 v[2:3], v[30:31], v[26:27]
	v_add_f64_e64 v[38:39], v[6:7], -v[10:11]
	v_add_f64_e32 v[0:1], v[28:29], v[24:25]
	v_add_f64_e64 v[36:37], v[4:5], -v[8:9]
	v_add_f64_e64 v[20:21], v[24:25], -v[12:13]
	;; [unrolled: 1-line block ×5, first 2 shown]
	v_add_f64_e32 v[4:5], v[16:17], v[4:5]
	v_add_f64_e32 v[6:7], v[18:19], v[6:7]
	v_add_f64_e64 v[16:17], v[8:9], -v[16:17]
	v_add_f64_e64 v[18:19], v[10:11], -v[18:19]
	;; [unrolled: 1-line block ×4, first 2 shown]
	v_add_f64_e32 v[42:43], v[14:15], v[2:3]
	v_add_f64_e64 v[14:15], v[14:15], -v[30:31]
	v_mul_f64_e32 v[46:47], s[2:3], v[38:39]
	v_add_f64_e32 v[40:41], v[12:13], v[0:1]
	v_add_f64_e64 v[12:13], v[12:13], -v[28:29]
	v_mul_f64_e32 v[44:45], s[2:3], v[36:37]
	v_mul_f64_e32 v[20:21], s[10:11], v[20:21]
	;; [unrolled: 1-line block ×5, first 2 shown]
	v_add_f64_e32 v[4:5], v[4:5], v[8:9]
	v_add_f64_e32 v[6:7], v[6:7], v[10:11]
	;; [unrolled: 1-line block ×3, first 2 shown]
	v_mul_f64_e32 v[30:31], s[18:19], v[14:15]
	v_add_f64_e32 v[0:1], v[88:89], v[40:41]
	v_mul_f64_e32 v[28:29], s[18:19], v[12:13]
	v_fma_f64 v[8:9], v[12:13], s[18:19], v[20:21]
	v_fma_f64 v[10:11], v[14:15], s[18:19], v[22:23]
	;; [unrolled: 1-line block ×4, first 2 shown]
	v_fma_f64 v[34:35], v[38:39], s[2:3], -v[34:35]
	s_wait_alu 0xfffe
	v_fma_f64 v[18:19], v[18:19], s[24:25], -v[46:47]
	v_fma_f64 v[20:21], v[24:25], s[20:21], -v[20:21]
	v_fma_f64 v[22:23], v[26:27], s[20:21], -v[22:23]
	v_fma_f64 v[32:33], v[36:37], s[2:3], -v[32:33]
	v_fma_f64 v[16:17], v[16:17], s[24:25], -v[44:45]
	v_fma_f64 v[38:39], v[42:43], s[12:13], v[2:3]
	v_fma_f64 v[26:27], v[26:27], s[16:17], -v[30:31]
	v_fma_f64 v[36:37], v[40:41], s[12:13], v[0:1]
	v_fma_f64 v[24:25], v[24:25], s[16:17], -v[28:29]
	v_fma_f64 v[28:29], v[4:5], s[26:27], v[12:13]
	v_fma_f64 v[30:31], v[6:7], s[26:27], v[14:15]
	;; [unrolled: 1-line block ×6, first 2 shown]
	v_add_f64_e32 v[46:47], v[10:11], v[38:39]
	v_add_f64_e32 v[18:19], v[26:27], v[38:39]
	;; [unrolled: 1-line block ×6, first 2 shown]
	v_add_f64_e64 v[6:7], v[46:47], -v[28:29]
	v_add_f64_e32 v[26:27], v[28:29], v[46:47]
	scratch_load_b32 v28, off, off offset:260 th:TH_LOAD_LU ; 4-byte Folded Reload
	v_add_f64_e64 v[10:11], v[22:23], -v[40:41]
	v_add_f64_e32 v[4:5], v[30:31], v[44:45]
	v_add_f64_e32 v[8:9], v[42:43], v[20:21]
	v_add_f64_e64 v[12:13], v[16:17], -v[34:35]
	v_add_f64_e32 v[14:15], v[32:33], v[18:19]
	v_add_f64_e32 v[16:17], v[34:35], v[16:17]
	v_add_f64_e64 v[18:19], v[18:19], -v[32:33]
	v_add_f64_e64 v[20:21], v[20:21], -v[42:43]
	v_add_f64_e32 v[22:23], v[40:41], v[22:23]
	v_add_f64_e64 v[24:25], v[44:45], -v[30:31]
	s_wait_loadcnt 0x0
	ds_store_b128 v28, v[0:3]
	ds_store_b128 v28, v[4:7] offset:416
	ds_store_b128 v28, v[8:11] offset:832
	ds_store_b128 v28, v[12:15] offset:1248
	ds_store_b128 v28, v[16:19] offset:1664
	ds_store_b128 v28, v[20:23] offset:2080
	ds_store_b128 v28, v[24:27] offset:2496
	s_and_saveexec_b32 s0, s1
	s_cbranch_execz .LBB0_29
; %bb.28:
	s_clause 0x5
	scratch_load_b128 v[32:35], off, off offset:332 th:TH_LOAD_LU
	scratch_load_b128 v[46:49], off, off offset:12 th:TH_LOAD_LU
	scratch_load_b128 v[28:31], off, off offset:316 th:TH_LOAD_LU
	scratch_load_b128 v[24:27], off, off offset:300 th:TH_LOAD_LU
	scratch_load_b128 v[42:45], off, off offset:380 th:TH_LOAD_LU
	scratch_load_b128 v[38:41], off, off offset:364 th:TH_LOAD_LU
	s_wait_loadcnt 0x4
	v_mul_f64_e32 v[0:1], v[34:35], v[46:47]
	v_mul_f64_e32 v[10:11], v[34:35], v[48:49]
	scratch_load_b128 v[34:37], off, off offset:348 th:TH_LOAD_LU ; 16-byte Folded Reload
	s_wait_loadcnt 0x4
	v_mul_f64_e32 v[2:3], v[30:31], v[84:85]
	s_wait_loadcnt 0x2
	v_mul_f64_e32 v[4:5], v[44:45], v[64:65]
	v_mul_f64_e32 v[6:7], v[26:27], v[80:81]
	;; [unrolled: 1-line block ×5, first 2 shown]
	s_wait_loadcnt 0x1
	v_mul_f64_e32 v[18:19], v[40:41], v[74:75]
	v_mul_f64_e32 v[20:21], v[40:41], v[72:73]
	v_fma_f64 v[0:1], v[32:33], v[48:49], -v[0:1]
	v_fma_f64 v[10:11], v[32:33], v[46:47], v[10:11]
	v_fma_f64 v[2:3], v[28:29], v[86:87], -v[2:3]
	v_fma_f64 v[4:5], v[42:43], v[66:67], -v[4:5]
	;; [unrolled: 1-line block ×3, first 2 shown]
	v_fma_f64 v[8:9], v[28:29], v[84:85], v[8:9]
	v_fma_f64 v[12:13], v[24:25], v[80:81], v[12:13]
	v_fma_f64 v[14:15], v[42:43], v[64:65], v[14:15]
	v_fma_f64 v[18:19], v[38:39], v[72:73], v[18:19]
	v_fma_f64 v[20:21], v[38:39], v[74:75], -v[20:21]
	v_add_f64_e32 v[24:25], v[2:3], v[0:1]
	v_add_f64_e32 v[26:27], v[6:7], v[4:5]
	;; [unrolled: 1-line block ×3, first 2 shown]
	v_add_f64_e64 v[8:9], v[8:9], -v[10:11]
	v_add_f64_e32 v[30:31], v[12:13], v[14:15]
	v_add_f64_e64 v[12:13], v[12:13], -v[14:15]
	v_add_f64_e64 v[4:5], v[6:7], -v[4:5]
	;; [unrolled: 1-line block ×3, first 2 shown]
	v_add_f64_e32 v[10:11], v[26:27], v[24:25]
	v_add_f64_e32 v[0:1], v[30:31], v[28:29]
	s_delay_alu instid0(VALU_DEP_3) | instskip(NEXT) | instid1(VALU_DEP_1)
	v_add_f64_e64 v[38:39], v[4:5], -v[6:7]
	v_mul_f64_e32 v[46:47], s[2:3], v[38:39]
	s_wait_loadcnt 0x0
	v_mul_f64_e32 v[16:17], v[36:37], v[70:71]
	v_mul_f64_e32 v[22:23], v[36:37], v[68:69]
	s_delay_alu instid0(VALU_DEP_2) | instskip(NEXT) | instid1(VALU_DEP_2)
	v_fma_f64 v[16:17], v[34:35], v[68:69], v[16:17]
	v_fma_f64 v[22:23], v[34:35], v[70:71], -v[22:23]
	v_add_f64_e64 v[34:35], v[12:13], -v[8:9]
	s_delay_alu instid0(VALU_DEP_3) | instskip(NEXT) | instid1(VALU_DEP_3)
	v_add_f64_e64 v[32:33], v[16:17], -v[18:19]
	v_add_f64_e32 v[14:15], v[20:21], v[22:23]
	v_add_f64_e32 v[16:17], v[18:19], v[16:17]
	v_add_f64_e64 v[18:19], v[22:23], -v[20:21]
	v_mul_f64_e32 v[44:45], s[2:3], v[34:35]
	v_add_f64_e64 v[2:3], v[32:33], -v[12:13]
	v_add_f64_e64 v[20:21], v[24:25], -v[14:15]
	;; [unrolled: 1-line block ×3, first 2 shown]
	v_add_f64_e32 v[10:11], v[14:15], v[10:11]
	v_add_f64_e64 v[14:15], v[14:15], -v[26:27]
	v_add_f64_e64 v[36:37], v[18:19], -v[4:5]
	v_add_f64_e32 v[40:41], v[16:17], v[0:1]
	v_add_f64_e64 v[16:17], v[16:17], -v[30:31]
	v_add_f64_e64 v[42:43], v[8:9], -v[32:33]
	v_add_f64_e32 v[12:13], v[32:33], v[12:13]
	v_add_f64_e32 v[4:5], v[18:19], v[4:5]
	v_add_f64_e64 v[18:19], v[6:7], -v[18:19]
	v_add_f64_e64 v[24:25], v[26:27], -v[24:25]
	;; [unrolled: 1-line block ×3, first 2 shown]
	v_mul_f64_e32 v[32:33], s[14:15], v[2:3]
	v_mul_f64_e32 v[20:21], s[10:11], v[20:21]
	;; [unrolled: 1-line block ×3, first 2 shown]
	v_add_f64_e32 v[2:3], v[78:79], v[10:11]
	v_mul_f64_e32 v[26:27], s[18:19], v[14:15]
	v_mul_f64_e32 v[36:37], s[14:15], v[36:37]
	v_add_f64_e32 v[0:1], v[76:77], v[40:41]
	v_mul_f64_e32 v[30:31], s[18:19], v[16:17]
	v_add_f64_e32 v[8:9], v[12:13], v[8:9]
	v_add_f64_e32 v[4:5], v[4:5], v[6:7]
	v_fma_f64 v[6:7], v[42:43], s[22:23], v[32:33]
	v_fma_f64 v[12:13], v[14:15], s[18:19], v[20:21]
	;; [unrolled: 1-line block ×3, first 2 shown]
	v_fma_f64 v[16:17], v[42:43], s[24:25], -v[44:45]
	v_fma_f64 v[32:33], v[34:35], s[2:3], -v[32:33]
	v_fma_f64 v[10:11], v[10:11], s[12:13], v[2:3]
	v_fma_f64 v[20:21], v[24:25], s[20:21], -v[20:21]
	v_fma_f64 v[24:25], v[24:25], s[16:17], -v[26:27]
	v_fma_f64 v[26:27], v[18:19], s[22:23], v[36:37]
	v_fma_f64 v[18:19], v[18:19], s[24:25], -v[46:47]
	v_fma_f64 v[34:35], v[38:39], s[2:3], -v[36:37]
	v_fma_f64 v[36:37], v[40:41], s[12:13], v[0:1]
	v_fma_f64 v[22:23], v[28:29], s[20:21], -v[22:23]
	v_fma_f64 v[28:29], v[28:29], s[16:17], -v[30:31]
	v_fma_f64 v[30:31], v[8:9], s[26:27], v[6:7]
	v_fma_f64 v[16:17], v[8:9], s[26:27], v[16:17]
	v_fma_f64 v[8:9], v[8:9], s[26:27], v[32:33]
	v_add_f64_e32 v[12:13], v[12:13], v[10:11]
	v_add_f64_e32 v[20:21], v[20:21], v[10:11]
	;; [unrolled: 1-line block ×3, first 2 shown]
	v_fma_f64 v[32:33], v[4:5], s[26:27], v[26:27]
	v_fma_f64 v[38:39], v[4:5], s[26:27], v[18:19]
	;; [unrolled: 1-line block ×3, first 2 shown]
	v_add_f64_e32 v[34:35], v[14:15], v[36:37]
	v_add_f64_e32 v[40:41], v[22:23], v[36:37]
	;; [unrolled: 1-line block ×5, first 2 shown]
	v_add_f64_e64 v[22:23], v[20:21], -v[16:17]
	v_add_f64_e64 v[26:27], v[12:13], -v[30:31]
	;; [unrolled: 1-line block ×3, first 2 shown]
	v_add_f64_e32 v[18:19], v[8:9], v[24:25]
	v_add_f64_e32 v[24:25], v[32:33], v[34:35]
	;; [unrolled: 1-line block ×3, first 2 shown]
	v_add_f64_e64 v[16:17], v[28:29], -v[4:5]
	v_add_f64_e32 v[12:13], v[4:5], v[28:29]
	scratch_load_b32 v28, off, off offset:244 th:TH_LOAD_LU ; 4-byte Folded Reload
	v_add_f64_e64 v[8:9], v[40:41], -v[38:39]
	v_add_f64_e64 v[4:5], v[34:35], -v[32:33]
	s_wait_loadcnt 0x0
	v_and_b32_e32 v28, 0xffff, v28
	s_delay_alu instid0(VALU_DEP_1)
	v_lshlrev_b32_e32 v28, 4, v28
	ds_store_b128 v28, v[0:3]
	ds_store_b128 v28, v[24:27] offset:416
	ds_store_b128 v28, v[20:23] offset:832
	;; [unrolled: 1-line block ×6, first 2 shown]
.LBB0_29:
	s_wait_alu 0xfffe
	s_or_b32 exec_lo, exec_lo, s0
	global_wb scope:SCOPE_SE
	s_wait_dscnt 0x0
	s_barrier_signal -1
	s_barrier_wait -1
	global_inv scope:SCOPE_SE
	ds_load_b128 v[0:3], v255 offset:2912
	ds_load_b128 v[4:7], v255 offset:29120
	;; [unrolled: 1-line block ×9, first 2 shown]
	s_mov_b32 s0, 0xf8bb580b
	s_mov_b32 s2, 0x8764f0ba
	;; [unrolled: 1-line block ×15, first 2 shown]
	s_wait_dscnt 0x7
	v_mul_f64_e32 v[44:45], v[178:179], v[4:5]
	s_wait_dscnt 0x6
	v_mul_f64_e32 v[46:47], v[146:147], v[8:9]
	v_mul_f64_e32 v[36:37], v[158:159], v[2:3]
	v_mul_f64_e32 v[38:39], v[158:159], v[0:1]
	s_wait_dscnt 0x5
	v_mul_f64_e32 v[48:49], v[174:175], v[12:13]
	v_mul_f64_e32 v[50:51], v[146:147], v[10:11]
	s_wait_dscnt 0x4
	v_mul_f64_e32 v[56:57], v[126:127], v[16:17]
	s_wait_dscnt 0x3
	v_mul_f64_e32 v[58:59], v[170:171], v[20:21]
	v_mul_f64_e32 v[62:63], v[126:127], v[18:19]
	;; [unrolled: 1-line block ×4, first 2 shown]
	s_wait_dscnt 0x0
	v_mul_f64_e32 v[72:73], v[166:167], v[34:35]
	v_mul_f64_e32 v[60:61], v[178:179], v[6:7]
	;; [unrolled: 1-line block ×7, first 2 shown]
	s_mov_b32 s27, 0xbfe4f49e
	s_mov_b32 s30, 0xfd768dbf
	;; [unrolled: 1-line block ×7, first 2 shown]
	s_wait_alu 0xfffe
	s_mov_b32 s10, s0
	s_mov_b32 s16, s12
	;; [unrolled: 1-line block ×8, first 2 shown]
	ds_load_b128 v[40:43], v255
	v_fma_f64 v[52:53], v[156:157], v[0:1], v[36:37]
	v_fma_f64 v[54:55], v[156:157], v[2:3], -v[38:39]
	ds_load_b128 v[36:39], v255 offset:17472
	v_fma_f64 v[0:1], v[176:177], v[6:7], -v[44:45]
	v_fma_f64 v[44:45], v[144:145], v[10:11], -v[46:47]
	;; [unrolled: 1-line block ×3, first 2 shown]
	v_fma_f64 v[14:15], v[144:145], v[8:9], v[50:51]
	v_fma_f64 v[18:19], v[124:125], v[18:19], -v[56:57]
	v_fma_f64 v[8:9], v[168:169], v[22:23], -v[58:59]
	v_fma_f64 v[16:17], v[124:125], v[16:17], v[62:63]
	v_fma_f64 v[10:11], v[168:169], v[20:21], v[68:69]
	v_fma_f64 v[22:23], v[164:165], v[32:33], v[72:73]
	v_fma_f64 v[4:5], v[176:177], v[4:5], v[60:61]
	v_fma_f64 v[6:7], v[172:173], v[12:13], v[64:65]
	v_fma_f64 v[12:13], v[128:129], v[24:25], v[66:67]
	v_fma_f64 v[20:21], v[128:129], v[26:27], -v[70:71]
	v_fma_f64 v[24:25], v[164:165], v[34:35], -v[74:75]
	v_fma_f64 v[26:27], v[132:133], v[28:29], v[76:77]
	v_fma_f64 v[28:29], v[132:133], v[30:31], -v[78:79]
	s_wait_dscnt 0x0
	v_mul_f64_e32 v[82:83], v[142:143], v[36:37]
	v_mul_f64_e32 v[80:81], v[142:143], v[38:39]
	v_add_f64_e32 v[46:47], v[40:41], v[52:53]
	v_add_f64_e32 v[48:49], v[42:43], v[54:55]
	v_add_f64_e64 v[34:35], v[54:55], -v[0:1]
	v_add_f64_e32 v[50:51], v[44:45], v[2:3]
	v_add_f64_e32 v[60:61], v[16:17], v[10:11]
	v_add_f64_e64 v[62:63], v[16:17], -v[10:11]
	v_add_f64_e32 v[56:57], v[52:53], v[4:5]
	v_add_f64_e64 v[52:53], v[52:53], -v[4:5]
	v_add_f64_e32 v[64:65], v[12:13], v[22:23]
	v_add_f64_e64 v[70:71], v[12:13], -v[22:23]
	v_add_f64_e32 v[58:59], v[14:15], v[6:7]
	v_add_f64_e32 v[66:67], v[20:21], v[24:25]
	v_add_f64_e64 v[68:69], v[20:21], -v[24:25]
	v_fma_f64 v[32:33], v[140:141], v[38:39], -v[82:83]
	v_add_f64_e64 v[38:39], v[44:45], -v[2:3]
	v_fma_f64 v[30:31], v[140:141], v[36:37], v[80:81]
	v_add_f64_e32 v[36:37], v[54:55], v[0:1]
	v_add_f64_e32 v[54:55], v[18:19], v[8:9]
	;; [unrolled: 1-line block ×4, first 2 shown]
	v_add_f64_e64 v[48:49], v[18:19], -v[8:9]
	v_mul_f64_e32 v[80:81], s[0:1], v[34:35]
	v_mul_f64_e32 v[84:85], s[12:13], v[34:35]
	;; [unrolled: 1-line block ×5, first 2 shown]
	v_add_f64_e64 v[14:15], v[14:15], -v[6:7]
	v_mul_f64_e32 v[98:99], s[14:15], v[50:51]
	v_mul_f64_e32 v[102:103], s[34:35], v[50:51]
	;; [unrolled: 1-line block ×5, first 2 shown]
	s_wait_alu 0xfffe
	v_mul_f64_e32 v[128:129], s[22:23], v[68:69]
	v_mul_f64_e32 v[130:131], s[20:21], v[66:67]
	;; [unrolled: 1-line block ×3, first 2 shown]
	v_add_f64_e32 v[74:75], v[28:29], v[32:33]
	v_mul_f64_e32 v[96:97], s[12:13], v[38:39]
	v_mul_f64_e32 v[100:101], s[24:25], v[38:39]
	;; [unrolled: 1-line block ×12, first 2 shown]
	v_add_f64_e32 v[72:73], v[26:27], v[30:31]
	v_add_f64_e64 v[76:77], v[26:27], -v[30:31]
	v_add_f64_e64 v[78:79], v[28:29], -v[32:33]
	v_add_f64_e32 v[16:17], v[46:47], v[16:17]
	v_add_f64_e32 v[18:19], v[44:45], v[18:19]
	v_mul_f64_e32 v[44:45], s[26:27], v[50:51]
	v_mul_f64_e32 v[46:47], s[36:37], v[38:39]
	v_fma_f64 v[156:157], v[56:57], s[14:15], v[84:85]
	v_fma_f64 v[84:85], v[56:57], s[14:15], -v[84:85]
	v_fma_f64 v[160:161], v[56:57], s[20:21], v[88:89]
	v_fma_f64 v[88:89], v[56:57], s[20:21], -v[88:89]
	v_fma_f64 v[164:165], v[56:57], s[26:27], v[92:93]
	v_mul_f64_e32 v[38:39], s[10:11], v[38:39]
	v_mul_f64_e32 v[50:51], s[2:3], v[50:51]
	v_fma_f64 v[92:93], v[56:57], s[26:27], -v[92:93]
	v_fma_f64 v[168:169], v[56:57], s[34:35], v[34:35]
	v_fma_f64 v[34:35], v[56:57], s[34:35], -v[34:35]
	v_mul_f64_e32 v[108:109], s[18:19], v[48:49]
	v_mul_f64_e32 v[112:113], s[36:37], v[48:49]
	;; [unrolled: 1-line block ×3, first 2 shown]
	v_fma_f64 v[178:179], v[14:15], s[30:31], v[102:103]
	v_mul_f64_e32 v[120:121], s[0:1], v[48:49]
	v_fma_f64 v[182:183], v[14:15], s[18:19], v[106:107]
	v_mul_f64_e32 v[48:49], s[24:25], v[48:49]
	v_mul_f64_e32 v[54:55], s[26:27], v[54:55]
	;; [unrolled: 1-line block ×6, first 2 shown]
	v_fma_f64 v[158:159], v[52:53], s[16:17], v[86:87]
	v_fma_f64 v[162:163], v[52:53], s[22:23], v[90:91]
	;; [unrolled: 1-line block ×9, first 2 shown]
	v_fma_f64 v[100:101], v[58:59], s[26:27], -v[100:101]
	v_fma_f64 v[180:181], v[58:59], s[20:21], v[104:105]
	v_fma_f64 v[104:105], v[58:59], s[20:21], -v[104:105]
	v_add_f64_e32 v[12:13], v[16:17], v[12:13]
	v_add_f64_e32 v[16:17], v[18:19], v[20:21]
	v_mul_f64_e32 v[18:19], s[20:21], v[74:75]
	v_fma_f64 v[20:21], v[56:57], s[2:3], v[80:81]
	v_fma_f64 v[74:75], v[52:53], s[10:11], v[82:83]
	v_fma_f64 v[80:81], v[56:57], s[2:3], -v[80:81]
	v_fma_f64 v[82:83], v[52:53], s[0:1], v[82:83]
	v_fma_f64 v[52:53], v[58:59], s[14:15], v[96:97]
	;; [unrolled: 1-line block ×3, first 2 shown]
	v_fma_f64 v[96:97], v[58:59], s[14:15], -v[96:97]
	v_fma_f64 v[98:99], v[14:15], s[12:13], v[98:99]
	v_fma_f64 v[174:175], v[14:15], s[28:29], v[44:45]
	v_add_f64_e32 v[156:157], v[40:41], v[156:157]
	v_fma_f64 v[176:177], v[58:59], s[34:35], v[46:47]
	v_add_f64_e32 v[84:85], v[40:41], v[84:85]
	v_add_f64_e32 v[160:161], v[40:41], v[160:161]
	v_fma_f64 v[46:47], v[58:59], s[34:35], -v[46:47]
	v_add_f64_e32 v[88:89], v[40:41], v[88:89]
	v_add_f64_e32 v[164:165], v[40:41], v[164:165]
	;; [unrolled: 1-line block ×4, first 2 shown]
	v_fma_f64 v[44:45], v[14:15], s[24:25], v[44:45]
	v_fma_f64 v[102:103], v[14:15], s[36:37], v[102:103]
	v_add_f64_e32 v[34:35], v[40:41], v[34:35]
	v_fma_f64 v[184:185], v[60:61], s[34:35], v[112:113]
	v_fma_f64 v[186:187], v[62:63], s[30:31], v[114:115]
	v_add_f64_e32 v[158:159], v[42:43], v[158:159]
	v_add_f64_e32 v[162:163], v[42:43], v[162:163]
	;; [unrolled: 1-line block ×5, first 2 shown]
	v_mul_f64_e32 v[134:135], s[2:3], v[66:67]
	v_add_f64_e32 v[90:91], v[42:43], v[90:91]
	v_add_f64_e32 v[86:87], v[42:43], v[86:87]
	v_fma_f64 v[188:189], v[60:61], s[14:15], v[116:117]
	v_fma_f64 v[190:191], v[62:63], s[12:13], v[118:119]
	v_mul_f64_e32 v[136:137], s[30:31], v[68:69]
	v_mul_f64_e32 v[138:139], s[34:35], v[66:67]
	v_add_f64_e32 v[12:13], v[12:13], v[26:27]
	v_add_f64_e32 v[16:17], v[16:17], v[28:29]
	v_fma_f64 v[26:27], v[14:15], s[22:23], v[106:107]
	v_add_f64_e32 v[20:21], v[40:41], v[20:21]
	v_fma_f64 v[28:29], v[58:59], s[2:3], v[38:39]
	v_add_f64_e32 v[80:81], v[40:41], v[80:81]
	v_add_f64_e32 v[82:83], v[42:43], v[82:83]
	v_fma_f64 v[106:107], v[14:15], s[0:1], v[50:51]
	v_fma_f64 v[38:39], v[58:59], s[2:3], -v[38:39]
	v_fma_f64 v[14:15], v[14:15], s[10:11], v[50:51]
	v_add_f64_e32 v[40:41], v[42:43], v[94:95]
	v_fma_f64 v[50:51], v[60:61], s[20:21], v[108:109]
	v_fma_f64 v[58:59], v[62:63], s[22:23], v[110:111]
	v_fma_f64 v[108:109], v[60:61], s[20:21], -v[108:109]
	v_fma_f64 v[110:111], v[62:63], s[18:19], v[110:111]
	v_add_f64_e32 v[84:85], v[100:101], v[84:85]
	v_mul_f64_e32 v[68:69], s[16:17], v[68:69]
	v_add_f64_e32 v[46:47], v[46:47], v[88:89]
	v_add_f64_e32 v[88:89], v[180:181], v[164:165]
	v_mul_f64_e32 v[66:67], s[14:15], v[66:67]
	v_fma_f64 v[116:117], v[60:61], s[14:15], -v[116:117]
	v_fma_f64 v[94:95], v[62:63], s[0:1], v[122:123]
	v_add_f64_e32 v[92:93], v[104:105], v[92:93]
	v_fma_f64 v[118:119], v[62:63], s[16:17], v[118:119]
	v_fma_f64 v[112:113], v[60:61], s[34:35], -v[112:113]
	v_fma_f64 v[114:115], v[62:63], s[36:37], v[114:115]
	v_mul_f64_e32 v[144:145], s[10:11], v[78:79]
	v_add_f64_e32 v[100:101], v[178:179], v[162:163]
	v_fma_f64 v[192:193], v[64:65], s[20:21], v[128:129]
	v_fma_f64 v[194:195], v[70:71], s[18:19], v[130:131]
	v_mul_f64_e32 v[140:141], s[30:31], v[78:79]
	v_mul_f64_e32 v[148:149], s[24:25], v[78:79]
	;; [unrolled: 1-line block ×4, first 2 shown]
	v_fma_f64 v[128:129], v[64:65], s[20:21], -v[128:129]
	v_fma_f64 v[130:131], v[70:71], s[22:23], v[130:131]
	v_add_f64_e32 v[12:13], v[12:13], v[30:31]
	v_add_f64_e32 v[16:17], v[16:17], v[32:33]
	;; [unrolled: 1-line block ×4, first 2 shown]
	v_fma_f64 v[32:33], v[60:61], s[2:3], v[120:121]
	v_add_f64_e32 v[52:53], v[96:97], v[80:81]
	v_add_f64_e32 v[80:81], v[98:99], v[82:83]
	;; [unrolled: 1-line block ×5, first 2 shown]
	v_fma_f64 v[42:43], v[62:63], s[10:11], v[122:123]
	v_add_f64_e32 v[156:157], v[182:183], v[166:167]
	v_fma_f64 v[74:75], v[60:61], s[2:3], -v[120:121]
	v_fma_f64 v[120:121], v[60:61], s[26:27], v[48:49]
	v_fma_f64 v[122:123], v[62:63], s[28:29], v[54:55]
	v_add_f64_e32 v[28:29], v[28:29], v[168:169]
	v_add_f64_e32 v[104:105], v[106:107], v[170:171]
	v_fma_f64 v[48:49], v[60:61], s[26:27], -v[48:49]
	v_fma_f64 v[54:55], v[62:63], s[24:25], v[54:55]
	v_add_f64_e32 v[34:35], v[38:39], v[34:35]
	v_add_f64_e32 v[14:15], v[14:15], v[36:37]
	;; [unrolled: 1-line block ×5, first 2 shown]
	v_fma_f64 v[60:61], v[64:65], s[26:27], v[124:125]
	v_fma_f64 v[62:63], v[70:71], s[28:29], v[126:127]
	v_fma_f64 v[124:125], v[64:65], s[26:27], -v[124:125]
	v_fma_f64 v[126:127], v[70:71], s[24:25], v[126:127]
	v_fma_f64 v[86:87], v[70:71], s[36:37], v[138:139]
	v_fma_f64 v[40:41], v[64:65], s[2:3], -v[132:133]
	v_fma_f64 v[90:91], v[64:65], s[34:35], -v[136:137]
	v_fma_f64 v[106:107], v[64:65], s[14:15], v[68:69]
	v_add_f64_e32 v[46:47], v[116:117], v[46:47]
	v_fma_f64 v[102:103], v[70:71], s[30:31], v[138:139]
	v_fma_f64 v[44:45], v[70:71], s[0:1], v[134:135]
	v_add_f64_e32 v[84:85], v[112:113], v[84:85]
	v_fma_f64 v[112:113], v[76:77], s[16:17], v[154:155]
	v_fma_f64 v[116:117], v[76:77], s[22:23], v[18:19]
	v_add_f64_e32 v[12:13], v[12:13], v[22:23]
	v_add_f64_e32 v[16:17], v[16:17], v[24:25]
	;; [unrolled: 1-line block ×4, first 2 shown]
	v_fma_f64 v[24:25], v[64:65], s[2:3], v[132:133]
	v_add_f64_e32 v[50:51], v[108:109], v[52:53]
	v_add_f64_e32 v[52:53], v[110:111], v[80:81]
	;; [unrolled: 1-line block ×4, first 2 shown]
	v_fma_f64 v[30:31], v[70:71], s[10:11], v[134:135]
	v_add_f64_e32 v[96:97], v[188:189], v[98:99]
	v_add_f64_e32 v[98:99], v[190:191], v[100:101]
	v_fma_f64 v[56:57], v[64:65], s[34:35], v[136:137]
	v_add_f64_e32 v[32:33], v[32:33], v[88:89]
	v_add_f64_e32 v[42:43], v[42:43], v[156:157]
	;; [unrolled: 3-line block ×3, first 2 shown]
	v_add_f64_e32 v[88:89], v[122:123], v[104:105]
	v_fma_f64 v[64:65], v[64:65], s[14:15], -v[68:69]
	v_fma_f64 v[66:67], v[70:71], s[16:17], v[66:67]
	v_add_f64_e32 v[34:35], v[48:49], v[34:35]
	v_add_f64_e32 v[14:15], v[54:55], v[14:15]
	;; [unrolled: 1-line block ×5, first 2 shown]
	v_fma_f64 v[70:71], v[76:77], s[36:37], v[142:143]
	v_fma_f64 v[136:137], v[76:77], s[30:31], v[142:143]
	;; [unrolled: 1-line block ×7, first 2 shown]
	v_fma_f64 v[134:135], v[72:73], s[34:35], -v[140:141]
	v_fma_f64 v[104:105], v[72:73], s[14:15], v[152:153]
	v_fma_f64 v[114:115], v[72:73], s[20:21], v[78:79]
	v_add_f64_e32 v[40:41], v[40:41], v[46:47]
	v_fma_f64 v[48:49], v[72:73], s[2:3], -v[144:145]
	v_add_f64_e32 v[10:11], v[12:13], v[10:11]
	v_add_f64_e32 v[8:9], v[16:17], v[8:9]
	;; [unrolled: 1-line block ×3, first 2 shown]
	v_fma_f64 v[16:17], v[72:73], s[2:3], v[144:145]
	v_fma_f64 v[22:23], v[76:77], s[0:1], v[146:147]
	;; [unrolled: 1-line block ×3, first 2 shown]
	v_add_f64_e32 v[18:19], v[60:61], v[20:21]
	v_add_f64_e32 v[20:21], v[124:125], v[50:51]
	;; [unrolled: 1-line block ×5, first 2 shown]
	v_fma_f64 v[58:59], v[72:73], s[26:27], v[148:149]
	v_add_f64_e32 v[24:25], v[24:25], v[96:97]
	v_add_f64_e32 v[30:31], v[30:31], v[98:99]
	;; [unrolled: 1-line block ×7, first 2 shown]
	v_fma_f64 v[94:95], v[72:73], s[26:27], -v[148:149]
	v_fma_f64 v[110:111], v[72:73], s[14:15], -v[152:153]
	;; [unrolled: 1-line block ×3, first 2 shown]
	v_add_f64_e32 v[64:65], v[64:65], v[34:35]
	v_add_f64_e32 v[66:67], v[66:67], v[14:15]
	;; [unrolled: 1-line block ×6, first 2 shown]
	s_mul_u64 s[0:1], s[4:5], 0x3e9
	s_wait_alu 0xfffe
	s_lshl_b64 s[2:3], s[0:1], 4
	v_add_f64_e32 v[84:85], v[10:11], v[6:7]
	v_add_f64_e32 v[86:87], v[8:9], v[2:3]
	;; [unrolled: 1-line block ×25, first 2 shown]
	ds_store_b128 v255, v[10:13] offset:5824
	ds_store_b128 v255, v[18:21] offset:8736
	;; [unrolled: 1-line block ×9, first 2 shown]
	ds_store_b128 v255, v[42:45]
	ds_store_b128 v255, v[2:5] offset:2912
	global_wb scope:SCOPE_SE
	s_wait_dscnt 0x0
	s_barrier_signal -1
	s_barrier_wait -1
	global_inv scope:SCOPE_SE
	ds_load_b128 v[0:3], v255
	ds_load_b128 v[4:7], v255 offset:16016
	scratch_load_b64 v[8:9], off, off offset:28 th:TH_LOAD_LU ; 8-byte Folded Reload
	s_wait_loadcnt 0x0
	v_mov_b32_e32 v44, v8
	ds_load_b128 v[8:11], v255 offset:2912
	ds_load_b128 v[12:15], v255 offset:18928
	scratch_load_b32 v85, off, off th:TH_LOAD_LU ; 4-byte Folded Reload
	ds_load_b128 v[16:19], v255 offset:5824
	ds_load_b128 v[20:23], v255 offset:21840
	;; [unrolled: 1-line block ×6, first 2 shown]
	s_clause 0x1
	scratch_load_b128 v[91:94], off, off offset:52 th:TH_LOAD_LU
	scratch_load_b128 v[87:90], off, off offset:36 th:TH_LOAD_LU
	v_mad_co_u64_u32 v[40:41], null, s6, v44, 0
	scratch_load_b128 v[101:104], off, off offset:116 th:TH_LOAD_LU ; 16-byte Folded Reload
	s_wait_loadcnt 0x3
	v_mad_co_u64_u32 v[42:43], null, s4, v85, 0
	s_wait_loadcnt_dscnt 0x209
	v_mul_f64_e32 v[47:48], v[93:94], v[0:1]
	s_wait_loadcnt_dscnt 0x108
	v_mul_f64_e32 v[49:50], v[89:90], v[6:7]
	v_mul_f64_e32 v[51:52], v[89:90], v[4:5]
	s_wait_loadcnt_dscnt 0x5
	v_mul_f64_e32 v[61:62], v[103:104], v[18:19]
	v_mul_f64_e32 v[63:64], v[103:104], v[16:17]
	v_mad_co_u64_u32 v[44:45], null, s7, v44, v[41:42]
	v_mul_f64_e32 v[45:46], v[93:94], v[2:3]
	s_clause 0x1
	scratch_load_b128 v[93:96], off, off offset:68 th:TH_LOAD_LU
	scratch_load_b128 v[103:106], off, off offset:132 th:TH_LOAD_LU
	s_movk_i32 s6, 0xfccd
	s_mov_b32 s7, -1
	v_mov_b32_e32 v41, v44
	v_mad_co_u64_u32 v[85:86], null, s5, v85, v[43:44]
	s_wait_alu 0xfffe
	s_mul_u64 s[4:5], s[4:5], s[6:7]
	s_mov_b32 s6, 0x27a3ee9c
	v_lshlrev_b64_e32 v[40:41], 4, v[40:41]
	s_wait_alu 0xfffe
	s_lshl_b64 s[4:5], s[4:5], 4
	s_mov_b32 s7, 0x3f405e1d
	v_mov_b32_e32 v43, v85
	s_delay_alu instid0(VALU_DEP_2) | instskip(SKIP_2) | instid1(VALU_DEP_3)
	v_add_co_u32 v85, s0, s8, v40
	s_wait_alu 0xf1ff
	v_add_co_ci_u32_e64 v86, s0, s9, v41, s0
	v_lshlrev_b64_e32 v[42:43], 4, v[42:43]
	s_delay_alu instid0(VALU_DEP_1) | instskip(SKIP_1) | instid1(VALU_DEP_2)
	v_add_co_u32 v42, s0, v85, v42
	s_wait_alu 0xf1ff
	v_add_co_ci_u32_e64 v43, s0, v86, v43, s0
	v_fma_f64 v[40:41], v[91:92], v[2:3], -v[47:48]
	v_fma_f64 v[0:1], v[91:92], v[0:1], v[45:46]
	v_fma_f64 v[44:45], v[87:88], v[4:5], v[49:50]
	v_fma_f64 v[46:47], v[87:88], v[6:7], -v[51:52]
	s_wait_alu 0xfffe
	s_delay_alu instid0(VALU_DEP_4) | instskip(NEXT) | instid1(VALU_DEP_4)
	v_mul_f64_e32 v[4:5], s[6:7], v[40:41]
	v_mul_f64_e32 v[2:3], s[6:7], v[0:1]
	s_delay_alu instid0(VALU_DEP_4)
	v_mul_f64_e32 v[6:7], s[6:7], v[44:45]
	s_wait_loadcnt 0x1
	v_mul_f64_e32 v[53:54], v[95:96], v[10:11]
	v_mul_f64_e32 v[55:56], v[95:96], v[8:9]
	scratch_load_b128 v[95:98], off, off offset:84 th:TH_LOAD_LU ; 16-byte Folded Reload
	s_wait_loadcnt_dscnt 0x103
	v_mul_f64_e32 v[69:70], v[105:106], v[26:27]
	v_mul_f64_e32 v[71:72], v[105:106], v[24:25]
	scratch_load_b128 v[105:108], off, off offset:148 th:TH_LOAD_LU ; 16-byte Folded Reload
	v_fma_f64 v[48:49], v[93:94], v[8:9], v[53:54]
	v_fma_f64 v[50:51], v[93:94], v[10:11], -v[55:56]
	v_mul_f64_e32 v[8:9], s[6:7], v[46:47]
	s_delay_alu instid0(VALU_DEP_3)
	v_mul_f64_e32 v[10:11], s[6:7], v[48:49]
	s_wait_loadcnt 0x1
	v_mul_f64_e32 v[57:58], v[97:98], v[14:15]
	v_mul_f64_e32 v[59:60], v[97:98], v[12:13]
	scratch_load_b128 v[97:100], off, off offset:100 th:TH_LOAD_LU ; 16-byte Folded Reload
	s_wait_loadcnt_dscnt 0x102
	v_mul_f64_e32 v[73:74], v[107:108], v[30:31]
	v_mul_f64_e32 v[75:76], v[107:108], v[28:29]
	scratch_load_b128 v[107:110], off, off offset:164 th:TH_LOAD_LU ; 16-byte Folded Reload
	v_fma_f64 v[52:53], v[95:96], v[12:13], v[57:58]
	v_fma_f64 v[54:55], v[95:96], v[14:15], -v[59:60]
	v_fma_f64 v[56:57], v[101:102], v[16:17], v[61:62]
	v_fma_f64 v[58:59], v[101:102], v[18:19], -v[63:64]
	v_mul_f64_e32 v[12:13], s[6:7], v[50:51]
	v_mul_f64_e32 v[14:15], s[6:7], v[52:53]
	v_mul_f64_e32 v[16:17], s[6:7], v[54:55]
	v_mul_f64_e32 v[18:19], s[6:7], v[56:57]
	s_wait_loadcnt 0x1
	v_mul_f64_e32 v[65:66], v[99:100], v[22:23]
	v_mul_f64_e32 v[67:68], v[99:100], v[20:21]
	s_wait_loadcnt_dscnt 0x1
	v_mul_f64_e32 v[77:78], v[109:110], v[34:35]
	v_mul_f64_e32 v[79:80], v[109:110], v[32:33]
	scratch_load_b128 v[109:112], off, off offset:180 th:TH_LOAD_LU ; 16-byte Folded Reload
	v_fma_f64 v[60:61], v[97:98], v[20:21], v[65:66]
	v_fma_f64 v[62:63], v[97:98], v[22:23], -v[67:68]
	v_fma_f64 v[64:65], v[103:104], v[24:25], v[69:70]
	v_fma_f64 v[66:67], v[103:104], v[26:27], -v[71:72]
	;; [unrolled: 2-line block ×3, first 2 shown]
	v_mul_f64_e32 v[20:21], s[6:7], v[58:59]
	v_fma_f64 v[72:73], v[107:108], v[32:33], v[77:78]
	v_fma_f64 v[74:75], v[107:108], v[34:35], -v[79:80]
	v_add_co_u32 v80, s0, v42, s2
	v_mul_f64_e32 v[22:23], s[6:7], v[60:61]
	v_mul_f64_e32 v[24:25], s[6:7], v[62:63]
	v_mul_f64_e32 v[26:27], s[6:7], v[64:65]
	v_mul_f64_e32 v[28:29], s[6:7], v[66:67]
	v_mul_f64_e32 v[30:31], s[6:7], v[68:69]
	v_mul_f64_e32 v[32:33], s[6:7], v[70:71]
	v_mul_f64_e32 v[34:35], s[6:7], v[72:73]
	s_wait_loadcnt_dscnt 0x0
	v_mul_f64_e32 v[81:82], v[111:112], v[38:39]
	v_mul_f64_e32 v[83:84], v[111:112], v[36:37]
	s_delay_alu instid0(VALU_DEP_2) | instskip(NEXT) | instid1(VALU_DEP_2)
	v_fma_f64 v[76:77], v[109:110], v[36:37], v[81:82]
	v_fma_f64 v[78:79], v[109:110], v[38:39], -v[83:84]
	s_wait_alu 0xf1ff
	v_add_co_ci_u32_e64 v81, s0, s3, v43, s0
	v_mul_f64_e32 v[36:37], s[6:7], v[74:75]
	v_add_co_u32 v82, s0, v80, s4
	s_wait_alu 0xf1ff
	s_delay_alu instid0(VALU_DEP_3) | instskip(NEXT) | instid1(VALU_DEP_2)
	v_add_co_ci_u32_e64 v83, s0, s5, v81, s0
	v_add_co_u32 v84, s0, v82, s2
	s_wait_alu 0xf1ff
	s_delay_alu instid0(VALU_DEP_2) | instskip(NEXT) | instid1(VALU_DEP_2)
	v_add_co_ci_u32_e64 v85, s0, s3, v83, s0
	v_add_co_u32 v44, s0, v84, s4
	s_wait_alu 0xf1ff
	s_delay_alu instid0(VALU_DEP_2) | instskip(NEXT) | instid1(VALU_DEP_2)
	v_add_co_ci_u32_e64 v45, s0, s5, v85, s0
	v_add_co_u32 v46, s0, v44, s2
	s_wait_alu 0xf1ff
	s_delay_alu instid0(VALU_DEP_2) | instskip(NEXT) | instid1(VALU_DEP_2)
	v_add_co_ci_u32_e64 v47, s0, s3, v45, s0
	v_add_co_u32 v48, s0, v46, s4
	s_wait_alu 0xf1ff
	s_delay_alu instid0(VALU_DEP_2) | instskip(NEXT) | instid1(VALU_DEP_2)
	v_add_co_ci_u32_e64 v49, s0, s5, v47, s0
	v_add_co_u32 v50, s0, v48, s2
	s_wait_alu 0xf1ff
	s_delay_alu instid0(VALU_DEP_2) | instskip(NEXT) | instid1(VALU_DEP_2)
	v_add_co_ci_u32_e64 v51, s0, s3, v49, s0
	v_add_co_u32 v52, s0, v50, s4
	s_wait_alu 0xf1ff
	s_delay_alu instid0(VALU_DEP_2)
	v_add_co_ci_u32_e64 v53, s0, s5, v51, s0
	v_mul_f64_e32 v[38:39], s[6:7], v[76:77]
	v_mul_f64_e32 v[40:41], s[6:7], v[78:79]
	v_add_co_u32 v0, s0, v52, s2
	s_wait_alu 0xf1ff
	v_add_co_ci_u32_e64 v1, s0, s3, v53, s0
	s_clause 0x4
	global_store_b128 v[42:43], v[2:5], off
	global_store_b128 v[80:81], v[6:9], off
	;; [unrolled: 1-line block ×10, first 2 shown]
	s_and_b32 exec_lo, exec_lo, vcc_lo
	s_cbranch_execz .LBB0_31
; %bb.30:
	scratch_load_b64 v[6:7], off, off offset:4 th:TH_LOAD_LU ; 8-byte Folded Reload
	v_add_co_u32 v0, vcc_lo, v0, s4
	s_wait_alu 0xfffd
	v_add_co_ci_u32_e32 v1, vcc_lo, s5, v1, vcc_lo
	s_wait_loadcnt 0x0
	s_clause 0x1
	global_load_b128 v[2:5], v[6:7], off offset:14560
	global_load_b128 v[6:9], v[6:7], off offset:30576
	ds_load_b128 v[10:13], v255 offset:14560
	ds_load_b128 v[14:17], v255 offset:30576
	s_wait_loadcnt_dscnt 0x101
	v_mul_f64_e32 v[18:19], v[12:13], v[4:5]
	v_mul_f64_e32 v[4:5], v[10:11], v[4:5]
	s_wait_loadcnt_dscnt 0x0
	v_mul_f64_e32 v[20:21], v[16:17], v[8:9]
	v_mul_f64_e32 v[8:9], v[14:15], v[8:9]
	s_delay_alu instid0(VALU_DEP_4) | instskip(NEXT) | instid1(VALU_DEP_4)
	v_fma_f64 v[10:11], v[10:11], v[2:3], v[18:19]
	v_fma_f64 v[4:5], v[2:3], v[12:13], -v[4:5]
	s_delay_alu instid0(VALU_DEP_4) | instskip(NEXT) | instid1(VALU_DEP_4)
	v_fma_f64 v[12:13], v[14:15], v[6:7], v[20:21]
	v_fma_f64 v[8:9], v[6:7], v[16:17], -v[8:9]
	s_delay_alu instid0(VALU_DEP_4) | instskip(NEXT) | instid1(VALU_DEP_4)
	v_mul_f64_e32 v[2:3], s[6:7], v[10:11]
	v_mul_f64_e32 v[4:5], s[6:7], v[4:5]
	s_delay_alu instid0(VALU_DEP_4) | instskip(NEXT) | instid1(VALU_DEP_4)
	v_mul_f64_e32 v[6:7], s[6:7], v[12:13]
	v_mul_f64_e32 v[8:9], s[6:7], v[8:9]
	v_add_co_u32 v10, vcc_lo, v0, s2
	s_wait_alu 0xfffd
	v_add_co_ci_u32_e32 v11, vcc_lo, s3, v1, vcc_lo
	global_store_b128 v[0:1], v[2:5], off
	global_store_b128 v[10:11], v[6:9], off
.LBB0_31:
	s_nop 0
	s_sendmsg sendmsg(MSG_DEALLOC_VGPRS)
	s_endpgm
	.section	.rodata,"a",@progbits
	.p2align	6, 0x0
	.amdhsa_kernel bluestein_single_back_len2002_dim1_dp_op_CI_CI
		.amdhsa_group_segment_fixed_size 32032
		.amdhsa_private_segment_fixed_size 576
		.amdhsa_kernarg_size 104
		.amdhsa_user_sgpr_count 2
		.amdhsa_user_sgpr_dispatch_ptr 0
		.amdhsa_user_sgpr_queue_ptr 0
		.amdhsa_user_sgpr_kernarg_segment_ptr 1
		.amdhsa_user_sgpr_dispatch_id 0
		.amdhsa_user_sgpr_private_segment_size 0
		.amdhsa_wavefront_size32 1
		.amdhsa_uses_dynamic_stack 0
		.amdhsa_enable_private_segment 1
		.amdhsa_system_sgpr_workgroup_id_x 1
		.amdhsa_system_sgpr_workgroup_id_y 0
		.amdhsa_system_sgpr_workgroup_id_z 0
		.amdhsa_system_sgpr_workgroup_info 0
		.amdhsa_system_vgpr_workitem_id 0
		.amdhsa_next_free_vgpr 256
		.amdhsa_next_free_sgpr 46
		.amdhsa_reserve_vcc 1
		.amdhsa_float_round_mode_32 0
		.amdhsa_float_round_mode_16_64 0
		.amdhsa_float_denorm_mode_32 3
		.amdhsa_float_denorm_mode_16_64 3
		.amdhsa_fp16_overflow 0
		.amdhsa_workgroup_processor_mode 1
		.amdhsa_memory_ordered 1
		.amdhsa_forward_progress 0
		.amdhsa_round_robin_scheduling 0
		.amdhsa_exception_fp_ieee_invalid_op 0
		.amdhsa_exception_fp_denorm_src 0
		.amdhsa_exception_fp_ieee_div_zero 0
		.amdhsa_exception_fp_ieee_overflow 0
		.amdhsa_exception_fp_ieee_underflow 0
		.amdhsa_exception_fp_ieee_inexact 0
		.amdhsa_exception_int_div_zero 0
	.end_amdhsa_kernel
	.text
.Lfunc_end0:
	.size	bluestein_single_back_len2002_dim1_dp_op_CI_CI, .Lfunc_end0-bluestein_single_back_len2002_dim1_dp_op_CI_CI
                                        ; -- End function
	.section	.AMDGPU.csdata,"",@progbits
; Kernel info:
; codeLenInByte = 23524
; NumSgprs: 48
; NumVgprs: 256
; ScratchSize: 576
; MemoryBound: 0
; FloatMode: 240
; IeeeMode: 1
; LDSByteSize: 32032 bytes/workgroup (compile time only)
; SGPRBlocks: 5
; VGPRBlocks: 31
; NumSGPRsForWavesPerEU: 48
; NumVGPRsForWavesPerEU: 256
; Occupancy: 5
; WaveLimiterHint : 1
; COMPUTE_PGM_RSRC2:SCRATCH_EN: 1
; COMPUTE_PGM_RSRC2:USER_SGPR: 2
; COMPUTE_PGM_RSRC2:TRAP_HANDLER: 0
; COMPUTE_PGM_RSRC2:TGID_X_EN: 1
; COMPUTE_PGM_RSRC2:TGID_Y_EN: 0
; COMPUTE_PGM_RSRC2:TGID_Z_EN: 0
; COMPUTE_PGM_RSRC2:TIDIG_COMP_CNT: 0
	.text
	.p2alignl 7, 3214868480
	.fill 96, 4, 3214868480
	.type	__hip_cuid_292f705ed3364508,@object ; @__hip_cuid_292f705ed3364508
	.section	.bss,"aw",@nobits
	.globl	__hip_cuid_292f705ed3364508
__hip_cuid_292f705ed3364508:
	.byte	0                               ; 0x0
	.size	__hip_cuid_292f705ed3364508, 1

	.ident	"AMD clang version 19.0.0git (https://github.com/RadeonOpenCompute/llvm-project roc-6.4.0 25133 c7fe45cf4b819c5991fe208aaa96edf142730f1d)"
	.section	".note.GNU-stack","",@progbits
	.addrsig
	.addrsig_sym __hip_cuid_292f705ed3364508
	.amdgpu_metadata
---
amdhsa.kernels:
  - .args:
      - .actual_access:  read_only
        .address_space:  global
        .offset:         0
        .size:           8
        .value_kind:     global_buffer
      - .actual_access:  read_only
        .address_space:  global
        .offset:         8
        .size:           8
        .value_kind:     global_buffer
      - .actual_access:  read_only
        .address_space:  global
        .offset:         16
        .size:           8
        .value_kind:     global_buffer
      - .actual_access:  read_only
        .address_space:  global
        .offset:         24
        .size:           8
        .value_kind:     global_buffer
      - .actual_access:  read_only
        .address_space:  global
        .offset:         32
        .size:           8
        .value_kind:     global_buffer
      - .offset:         40
        .size:           8
        .value_kind:     by_value
      - .address_space:  global
        .offset:         48
        .size:           8
        .value_kind:     global_buffer
      - .address_space:  global
        .offset:         56
        .size:           8
        .value_kind:     global_buffer
      - .address_space:  global
        .offset:         64
        .size:           8
        .value_kind:     global_buffer
      - .address_space:  global
        .offset:         72
        .size:           8
        .value_kind:     global_buffer
      - .offset:         80
        .size:           4
        .value_kind:     by_value
      - .address_space:  global
        .offset:         88
        .size:           8
        .value_kind:     global_buffer
      - .address_space:  global
        .offset:         96
        .size:           8
        .value_kind:     global_buffer
    .group_segment_fixed_size: 32032
    .kernarg_segment_align: 8
    .kernarg_segment_size: 104
    .language:       OpenCL C
    .language_version:
      - 2
      - 0
    .max_flat_workgroup_size: 182
    .name:           bluestein_single_back_len2002_dim1_dp_op_CI_CI
    .private_segment_fixed_size: 576
    .sgpr_count:     48
    .sgpr_spill_count: 0
    .symbol:         bluestein_single_back_len2002_dim1_dp_op_CI_CI.kd
    .uniform_work_group_size: 1
    .uses_dynamic_stack: false
    .vgpr_count:     256
    .vgpr_spill_count: 203
    .wavefront_size: 32
    .workgroup_processor_mode: 1
amdhsa.target:   amdgcn-amd-amdhsa--gfx1201
amdhsa.version:
  - 1
  - 2
...

	.end_amdgpu_metadata
